;; amdgpu-corpus repo=ROCm/rocFFT kind=compiled arch=gfx906 opt=O3
	.text
	.amdgcn_target "amdgcn-amd-amdhsa--gfx906"
	.amdhsa_code_object_version 6
	.protected	fft_rtc_fwd_len1008_factors_2_2_2_2_3_3_7_wgs_56_tpt_56_halfLds_sp_ip_CI_unitstride_sbrr_C2R_dirReg ; -- Begin function fft_rtc_fwd_len1008_factors_2_2_2_2_3_3_7_wgs_56_tpt_56_halfLds_sp_ip_CI_unitstride_sbrr_C2R_dirReg
	.globl	fft_rtc_fwd_len1008_factors_2_2_2_2_3_3_7_wgs_56_tpt_56_halfLds_sp_ip_CI_unitstride_sbrr_C2R_dirReg
	.p2align	8
	.type	fft_rtc_fwd_len1008_factors_2_2_2_2_3_3_7_wgs_56_tpt_56_halfLds_sp_ip_CI_unitstride_sbrr_C2R_dirReg,@function
fft_rtc_fwd_len1008_factors_2_2_2_2_3_3_7_wgs_56_tpt_56_halfLds_sp_ip_CI_unitstride_sbrr_C2R_dirReg: ; @fft_rtc_fwd_len1008_factors_2_2_2_2_3_3_7_wgs_56_tpt_56_halfLds_sp_ip_CI_unitstride_sbrr_C2R_dirReg
; %bb.0:
	s_load_dwordx2 s[2:3], s[4:5], 0x50
	s_load_dwordx4 s[8:11], s[4:5], 0x0
	s_load_dwordx2 s[12:13], s[4:5], 0x18
	v_mul_u32_u24_e32 v1, 0x493, v0
	v_add_u32_sdwa v5, s6, v1 dst_sel:DWORD dst_unused:UNUSED_PAD src0_sel:DWORD src1_sel:WORD_1
	v_mov_b32_e32 v3, 0
	s_waitcnt lgkmcnt(0)
	v_cmp_lt_u64_e64 s[0:1], s[10:11], 2
	v_mov_b32_e32 v1, 0
	v_mov_b32_e32 v6, v3
	s_and_b64 vcc, exec, s[0:1]
	v_mov_b32_e32 v2, 0
	s_cbranch_vccnz .LBB0_8
; %bb.1:
	s_load_dwordx2 s[0:1], s[4:5], 0x10
	s_add_u32 s6, s12, 8
	s_addc_u32 s7, s13, 0
	v_mov_b32_e32 v1, 0
	v_mov_b32_e32 v2, 0
	s_waitcnt lgkmcnt(0)
	s_add_u32 s14, s0, 8
	s_addc_u32 s15, s1, 0
	s_mov_b64 s[16:17], 1
.LBB0_2:                                ; =>This Inner Loop Header: Depth=1
	s_load_dwordx2 s[18:19], s[14:15], 0x0
                                        ; implicit-def: $vgpr7_vgpr8
	s_waitcnt lgkmcnt(0)
	v_or_b32_e32 v4, s19, v6
	v_cmp_ne_u64_e32 vcc, 0, v[3:4]
	s_and_saveexec_b64 s[0:1], vcc
	s_xor_b64 s[20:21], exec, s[0:1]
	s_cbranch_execz .LBB0_4
; %bb.3:                                ;   in Loop: Header=BB0_2 Depth=1
	v_cvt_f32_u32_e32 v4, s18
	v_cvt_f32_u32_e32 v7, s19
	s_sub_u32 s0, 0, s18
	s_subb_u32 s1, 0, s19
	v_mac_f32_e32 v4, 0x4f800000, v7
	v_rcp_f32_e32 v4, v4
	v_mul_f32_e32 v4, 0x5f7ffffc, v4
	v_mul_f32_e32 v7, 0x2f800000, v4
	v_trunc_f32_e32 v7, v7
	v_mac_f32_e32 v4, 0xcf800000, v7
	v_cvt_u32_f32_e32 v7, v7
	v_cvt_u32_f32_e32 v4, v4
	v_mul_lo_u32 v8, s0, v7
	v_mul_hi_u32 v9, s0, v4
	v_mul_lo_u32 v11, s1, v4
	v_mul_lo_u32 v10, s0, v4
	v_add_u32_e32 v8, v9, v8
	v_add_u32_e32 v8, v8, v11
	v_mul_hi_u32 v9, v4, v10
	v_mul_lo_u32 v11, v4, v8
	v_mul_hi_u32 v13, v4, v8
	v_mul_hi_u32 v12, v7, v10
	v_mul_lo_u32 v10, v7, v10
	v_mul_hi_u32 v14, v7, v8
	v_add_co_u32_e32 v9, vcc, v9, v11
	v_addc_co_u32_e32 v11, vcc, 0, v13, vcc
	v_mul_lo_u32 v8, v7, v8
	v_add_co_u32_e32 v9, vcc, v9, v10
	v_addc_co_u32_e32 v9, vcc, v11, v12, vcc
	v_addc_co_u32_e32 v10, vcc, 0, v14, vcc
	v_add_co_u32_e32 v8, vcc, v9, v8
	v_addc_co_u32_e32 v9, vcc, 0, v10, vcc
	v_add_co_u32_e32 v4, vcc, v4, v8
	v_addc_co_u32_e32 v7, vcc, v7, v9, vcc
	v_mul_lo_u32 v8, s0, v7
	v_mul_hi_u32 v9, s0, v4
	v_mul_lo_u32 v10, s1, v4
	v_mul_lo_u32 v11, s0, v4
	v_add_u32_e32 v8, v9, v8
	v_add_u32_e32 v8, v8, v10
	v_mul_lo_u32 v12, v4, v8
	v_mul_hi_u32 v13, v4, v11
	v_mul_hi_u32 v14, v4, v8
	;; [unrolled: 1-line block ×3, first 2 shown]
	v_mul_lo_u32 v11, v7, v11
	v_mul_hi_u32 v9, v7, v8
	v_add_co_u32_e32 v12, vcc, v13, v12
	v_addc_co_u32_e32 v13, vcc, 0, v14, vcc
	v_mul_lo_u32 v8, v7, v8
	v_add_co_u32_e32 v11, vcc, v12, v11
	v_addc_co_u32_e32 v10, vcc, v13, v10, vcc
	v_addc_co_u32_e32 v9, vcc, 0, v9, vcc
	v_add_co_u32_e32 v8, vcc, v10, v8
	v_addc_co_u32_e32 v9, vcc, 0, v9, vcc
	v_add_co_u32_e32 v4, vcc, v4, v8
	v_addc_co_u32_e32 v9, vcc, v7, v9, vcc
	v_mad_u64_u32 v[7:8], s[0:1], v5, v9, 0
	v_mul_hi_u32 v10, v5, v4
	v_add_co_u32_e32 v11, vcc, v10, v7
	v_addc_co_u32_e32 v12, vcc, 0, v8, vcc
	v_mad_u64_u32 v[7:8], s[0:1], v6, v4, 0
	v_mad_u64_u32 v[9:10], s[0:1], v6, v9, 0
	v_add_co_u32_e32 v4, vcc, v11, v7
	v_addc_co_u32_e32 v4, vcc, v12, v8, vcc
	v_addc_co_u32_e32 v7, vcc, 0, v10, vcc
	v_add_co_u32_e32 v4, vcc, v4, v9
	v_addc_co_u32_e32 v9, vcc, 0, v7, vcc
	v_mul_lo_u32 v10, s19, v4
	v_mul_lo_u32 v11, s18, v9
	v_mad_u64_u32 v[7:8], s[0:1], s18, v4, 0
	v_add3_u32 v8, v8, v11, v10
	v_sub_u32_e32 v10, v6, v8
	v_mov_b32_e32 v11, s19
	v_sub_co_u32_e32 v7, vcc, v5, v7
	v_subb_co_u32_e64 v10, s[0:1], v10, v11, vcc
	v_subrev_co_u32_e64 v11, s[0:1], s18, v7
	v_subbrev_co_u32_e64 v10, s[0:1], 0, v10, s[0:1]
	v_cmp_le_u32_e64 s[0:1], s19, v10
	v_cndmask_b32_e64 v12, 0, -1, s[0:1]
	v_cmp_le_u32_e64 s[0:1], s18, v11
	v_cndmask_b32_e64 v11, 0, -1, s[0:1]
	v_cmp_eq_u32_e64 s[0:1], s19, v10
	v_cndmask_b32_e64 v10, v12, v11, s[0:1]
	v_add_co_u32_e64 v11, s[0:1], 2, v4
	v_addc_co_u32_e64 v12, s[0:1], 0, v9, s[0:1]
	v_add_co_u32_e64 v13, s[0:1], 1, v4
	v_addc_co_u32_e64 v14, s[0:1], 0, v9, s[0:1]
	v_subb_co_u32_e32 v8, vcc, v6, v8, vcc
	v_cmp_ne_u32_e64 s[0:1], 0, v10
	v_cmp_le_u32_e32 vcc, s19, v8
	v_cndmask_b32_e64 v10, v14, v12, s[0:1]
	v_cndmask_b32_e64 v12, 0, -1, vcc
	v_cmp_le_u32_e32 vcc, s18, v7
	v_cndmask_b32_e64 v7, 0, -1, vcc
	v_cmp_eq_u32_e32 vcc, s19, v8
	v_cndmask_b32_e32 v7, v12, v7, vcc
	v_cmp_ne_u32_e32 vcc, 0, v7
	v_cndmask_b32_e64 v7, v13, v11, s[0:1]
	v_cndmask_b32_e32 v8, v9, v10, vcc
	v_cndmask_b32_e32 v7, v4, v7, vcc
.LBB0_4:                                ;   in Loop: Header=BB0_2 Depth=1
	s_andn2_saveexec_b64 s[0:1], s[20:21]
	s_cbranch_execz .LBB0_6
; %bb.5:                                ;   in Loop: Header=BB0_2 Depth=1
	v_cvt_f32_u32_e32 v4, s18
	s_sub_i32 s20, 0, s18
	v_rcp_iflag_f32_e32 v4, v4
	v_mul_f32_e32 v4, 0x4f7ffffe, v4
	v_cvt_u32_f32_e32 v4, v4
	v_mul_lo_u32 v7, s20, v4
	v_mul_hi_u32 v7, v4, v7
	v_add_u32_e32 v4, v4, v7
	v_mul_hi_u32 v4, v5, v4
	v_mul_lo_u32 v7, v4, s18
	v_add_u32_e32 v8, 1, v4
	v_sub_u32_e32 v7, v5, v7
	v_subrev_u32_e32 v9, s18, v7
	v_cmp_le_u32_e32 vcc, s18, v7
	v_cndmask_b32_e32 v7, v7, v9, vcc
	v_cndmask_b32_e32 v4, v4, v8, vcc
	v_add_u32_e32 v8, 1, v4
	v_cmp_le_u32_e32 vcc, s18, v7
	v_cndmask_b32_e32 v7, v4, v8, vcc
	v_mov_b32_e32 v8, v3
.LBB0_6:                                ;   in Loop: Header=BB0_2 Depth=1
	s_or_b64 exec, exec, s[0:1]
	v_mul_lo_u32 v4, v8, s18
	v_mul_lo_u32 v11, v7, s19
	v_mad_u64_u32 v[9:10], s[0:1], v7, s18, 0
	s_load_dwordx2 s[0:1], s[6:7], 0x0
	s_add_u32 s16, s16, 1
	v_add3_u32 v4, v10, v11, v4
	v_sub_co_u32_e32 v5, vcc, v5, v9
	v_subb_co_u32_e32 v4, vcc, v6, v4, vcc
	s_waitcnt lgkmcnt(0)
	v_mul_lo_u32 v4, s0, v4
	v_mul_lo_u32 v6, s1, v5
	v_mad_u64_u32 v[1:2], s[0:1], s0, v5, v[1:2]
	s_addc_u32 s17, s17, 0
	s_add_u32 s6, s6, 8
	v_add3_u32 v2, v6, v2, v4
	v_mov_b32_e32 v4, s10
	v_mov_b32_e32 v5, s11
	s_addc_u32 s7, s7, 0
	v_cmp_ge_u64_e32 vcc, s[16:17], v[4:5]
	s_add_u32 s14, s14, 8
	s_addc_u32 s15, s15, 0
	s_cbranch_vccnz .LBB0_9
; %bb.7:                                ;   in Loop: Header=BB0_2 Depth=1
	v_mov_b32_e32 v5, v7
	v_mov_b32_e32 v6, v8
	s_branch .LBB0_2
.LBB0_8:
	v_mov_b32_e32 v8, v6
	v_mov_b32_e32 v7, v5
.LBB0_9:
	s_lshl_b64 s[0:1], s[10:11], 3
	s_add_u32 s0, s12, s0
	s_addc_u32 s1, s13, s1
	s_load_dwordx2 s[6:7], s[0:1], 0x0
	s_load_dwordx2 s[10:11], s[4:5], 0x20
	s_waitcnt lgkmcnt(0)
	v_mad_u64_u32 v[1:2], s[0:1], s6, v7, v[1:2]
	v_mul_lo_u32 v3, s6, v8
	v_mul_lo_u32 v4, s7, v7
	s_mov_b32 s0, 0x4924925
	v_mul_hi_u32 v5, v0, s0
	v_cmp_gt_u64_e64 s[0:1], s[10:11], v[7:8]
	v_add3_u32 v2, v4, v2, v3
	v_lshlrev_b64 v[42:43], 3, v[1:2]
	v_mul_u32_u24_e32 v3, 56, v5
	v_sub_u32_e32 v40, v0, v3
	s_and_saveexec_b64 s[4:5], s[0:1]
	s_cbranch_execz .LBB0_13
; %bb.10:
	v_mov_b32_e32 v41, 0
	v_mov_b32_e32 v0, s3
	v_add_co_u32_e32 v1, vcc, s2, v42
	v_lshlrev_b64 v[2:3], 3, v[40:41]
	v_addc_co_u32_e32 v0, vcc, v0, v43, vcc
	v_add_co_u32_e32 v2, vcc, v1, v2
	v_addc_co_u32_e32 v3, vcc, v0, v3, vcc
	s_movk_i32 s6, 0x1000
	v_add_co_u32_e32 v12, vcc, s6, v2
	global_load_dwordx2 v[4:5], v[2:3], off offset:1792
	global_load_dwordx2 v[6:7], v[2:3], off offset:2240
	global_load_dwordx2 v[8:9], v[2:3], off offset:2688
	global_load_dwordx2 v[10:11], v[2:3], off offset:3136
	v_addc_co_u32_e32 v13, vcc, 0, v3, vcc
	global_load_dwordx2 v[14:15], v[2:3], off offset:3584
	global_load_dwordx2 v[16:17], v[2:3], off offset:4032
	;; [unrolled: 1-line block ×4, first 2 shown]
	global_load_dwordx2 v[22:23], v[2:3], off
	global_load_dwordx2 v[24:25], v[2:3], off offset:448
	global_load_dwordx2 v[26:27], v[2:3], off offset:896
	;; [unrolled: 1-line block ×3, first 2 shown]
	v_or_b32_e32 v2, 0x380, v40
	v_mov_b32_e32 v3, v41
	v_lshlrev_b64 v[2:3], 3, v[2:3]
	v_add_co_u32_e32 v2, vcc, v1, v2
	v_addc_co_u32_e32 v3, vcc, v0, v3, vcc
	global_load_dwordx2 v[30:31], v[12:13], off offset:1280
	global_load_dwordx2 v[32:33], v[12:13], off offset:1728
	;; [unrolled: 1-line block ×4, first 2 shown]
	global_load_dwordx2 v[38:39], v[2:3], off
	global_load_dwordx2 v[44:45], v[12:13], off offset:3520
	v_lshl_add_u32 v2, v40, 3, 0
	v_add_u32_e32 v3, 0x400, v2
	v_cmp_eq_u32_e32 vcc, 55, v40
	v_add_u32_e32 v12, 0x800, v2
	v_add_u32_e32 v13, 0x1000, v2
	;; [unrolled: 1-line block ×3, first 2 shown]
	s_waitcnt vmcnt(16)
	ds_write2_b64 v3, v[4:5], v[6:7] offset0:96 offset1:152
	s_waitcnt vmcnt(14)
	ds_write2_b64 v12, v[8:9], v[10:11] offset0:80 offset1:136
	;; [unrolled: 2-line block ×3, first 2 shown]
	s_waitcnt vmcnt(8)
	ds_write2_b64 v2, v[22:23], v[24:25] offset1:56
	s_waitcnt vmcnt(6)
	ds_write2_b64 v2, v[26:27], v[28:29] offset0:112 offset1:168
	ds_write2_b64 v13, v[18:19], v[20:21] offset0:48 offset1:104
	s_waitcnt vmcnt(4)
	ds_write2_b64 v13, v[30:31], v[32:33] offset0:160 offset1:216
	s_waitcnt vmcnt(2)
	;; [unrolled: 2-line block ×3, first 2 shown]
	ds_write2_b64 v46, v[38:39], v[44:45] offset0:128 offset1:184
	s_and_saveexec_b64 s[6:7], vcc
	s_cbranch_execz .LBB0_12
; %bb.11:
	v_add_co_u32_e32 v1, vcc, 0x1000, v1
	v_addc_co_u32_e32 v2, vcc, 0, v0, vcc
	global_load_dwordx2 v[0:1], v[1:2], off offset:3968
	v_mov_b32_e32 v40, 55
	s_waitcnt vmcnt(0)
	ds_write_b64 v41, v[0:1] offset:8064
.LBB0_12:
	s_or_b64 exec, exec, s[6:7]
.LBB0_13:
	s_or_b64 exec, exec, s[4:5]
	v_lshlrev_b32_e32 v0, 3, v40
	v_add_u32_e32 v46, 0, v0
	s_waitcnt lgkmcnt(0)
	; wave barrier
	s_waitcnt lgkmcnt(0)
	v_sub_u32_e32 v4, 0, v0
	ds_read_b32 v5, v46
	ds_read_b32 v6, v4 offset:8064
	s_add_u32 s6, s8, 0x1f70
	s_addc_u32 s7, s9, 0
	v_cmp_ne_u32_e32 vcc, 0, v40
                                        ; implicit-def: $vgpr2_vgpr3
	s_waitcnt lgkmcnt(0)
	v_add_f32_e32 v0, v6, v5
	v_sub_f32_e32 v1, v5, v6
	s_and_saveexec_b64 s[4:5], vcc
	s_xor_b64 s[4:5], exec, s[4:5]
	s_cbranch_execz .LBB0_15
; %bb.14:
	v_mov_b32_e32 v41, 0
	v_lshlrev_b64 v[0:1], 3, v[40:41]
	v_mov_b32_e32 v2, s7
	v_add_co_u32_e32 v0, vcc, s6, v0
	v_addc_co_u32_e32 v1, vcc, v2, v1, vcc
	global_load_dwordx2 v[2:3], v[0:1], off
	ds_read_b32 v0, v4 offset:8068
	ds_read_b32 v1, v46 offset:4
	v_add_f32_e32 v7, v6, v5
	v_sub_f32_e32 v8, v5, v6
	s_waitcnt lgkmcnt(0)
	v_add_f32_e32 v9, v0, v1
	v_sub_f32_e32 v0, v1, v0
	s_waitcnt vmcnt(0)
	v_fma_f32 v10, v8, v3, v7
	v_fma_f32 v1, v9, v3, v0
	v_fma_f32 v5, -v8, v3, v7
	v_fma_f32 v6, v9, v3, -v0
	v_fma_f32 v0, -v2, v9, v10
	v_fmac_f32_e32 v1, v8, v2
	v_fmac_f32_e32 v5, v2, v9
	;; [unrolled: 1-line block ×3, first 2 shown]
	v_mov_b32_e32 v2, v40
	ds_write_b64 v4, v[5:6] offset:8064
	v_mov_b32_e32 v3, v41
.LBB0_15:
	s_andn2_saveexec_b64 s[4:5], s[4:5]
	s_cbranch_execz .LBB0_17
; %bb.16:
	v_mov_b32_e32 v7, 0
	ds_read_b64 v[2:3], v7 offset:4032
	s_waitcnt lgkmcnt(0)
	v_add_f32_e32 v5, v2, v2
	v_mul_f32_e32 v6, -2.0, v3
	v_mov_b32_e32 v2, 0
	v_mov_b32_e32 v3, 0
	ds_write_b64 v7, v[5:6] offset:4032
.LBB0_17:
	s_or_b64 exec, exec, s[4:5]
	v_lshlrev_b64 v[2:3], 3, v[2:3]
	v_mov_b32_e32 v5, s7
	v_add_co_u32_e32 v2, vcc, s6, v2
	v_addc_co_u32_e32 v3, vcc, v5, v3, vcc
	global_load_dwordx2 v[5:6], v[2:3], off offset:448
	global_load_dwordx2 v[7:8], v[2:3], off offset:896
	global_load_dwordx2 v[9:10], v[2:3], off offset:1344
	global_load_dwordx2 v[11:12], v[2:3], off offset:1792
	ds_write_b64 v46, v[0:1]
	ds_read_b64 v[0:1], v46 offset:448
	ds_read_b64 v[13:14], v4 offset:7616
	global_load_dwordx2 v[15:16], v[2:3], off offset:2240
	v_add_u32_e32 v41, 0x800, v46
	v_add_u32_e32 v47, 0x1000, v46
	v_lshl_add_u32 v37, v40, 3, v46
	s_waitcnt lgkmcnt(0)
	v_add_f32_e32 v17, v0, v13
	v_add_f32_e32 v18, v14, v1
	v_sub_f32_e32 v19, v0, v13
	v_sub_f32_e32 v13, v1, v14
	v_add_u32_e32 v48, 0x1800, v46
	v_add_u32_e32 v49, 0x70, v40
	;; [unrolled: 1-line block ×4, first 2 shown]
	v_or_b32_e32 v55, 0x1c0, v40
	v_and_b32_e32 v56, 1, v40
	s_movk_i32 s4, 0x7c
	s_movk_i32 s5, 0x2fc
	v_cmp_gt_u32_e32 vcc, 48, v40
	s_waitcnt vmcnt(4)
	v_fma_f32 v20, v19, v6, v17
	v_fma_f32 v14, v18, v6, v13
	v_fma_f32 v0, -v19, v6, v17
	v_fma_f32 v1, v18, v6, -v13
	v_fma_f32 v13, -v5, v18, v20
	v_fmac_f32_e32 v14, v19, v5
	v_fmac_f32_e32 v0, v5, v18
	v_fmac_f32_e32 v1, v19, v5
	ds_write_b64 v46, v[13:14] offset:448
	ds_write_b64 v4, v[0:1] offset:7616
	ds_read_b64 v[0:1], v46 offset:896
	ds_read_b64 v[5:6], v4 offset:7168
	global_load_dwordx2 v[13:14], v[2:3], off offset:2688
	s_waitcnt lgkmcnt(0)
	v_add_f32_e32 v17, v0, v5
	v_add_f32_e32 v18, v6, v1
	v_sub_f32_e32 v19, v0, v5
	v_sub_f32_e32 v0, v1, v6
	s_waitcnt vmcnt(4)
	v_fma_f32 v20, v19, v8, v17
	v_fma_f32 v1, v18, v8, v0
	v_fma_f32 v5, -v19, v8, v17
	v_fma_f32 v6, v18, v8, -v0
	v_fma_f32 v0, -v7, v18, v20
	v_fmac_f32_e32 v1, v19, v7
	v_fmac_f32_e32 v5, v7, v18
	v_fmac_f32_e32 v6, v19, v7
	ds_write_b64 v46, v[0:1] offset:896
	ds_write_b64 v4, v[5:6] offset:7168
	ds_read_b64 v[0:1], v46 offset:1344
	ds_read_b64 v[5:6], v4 offset:6720
	global_load_dwordx2 v[7:8], v[2:3], off offset:3136
	s_waitcnt lgkmcnt(0)
	v_add_f32_e32 v17, v0, v5
	v_add_f32_e32 v18, v6, v1
	v_sub_f32_e32 v19, v0, v5
	v_sub_f32_e32 v0, v1, v6
	;; [unrolled: 19-line block ×3, first 2 shown]
	s_waitcnt vmcnt(4)
	v_fma_f32 v18, v17, v12, v9
	v_fma_f32 v1, v10, v12, v0
	v_fma_f32 v5, -v17, v12, v9
	v_fma_f32 v6, v10, v12, -v0
	v_fma_f32 v0, -v11, v10, v18
	v_fmac_f32_e32 v1, v17, v11
	v_fmac_f32_e32 v5, v11, v10
	v_fmac_f32_e32 v6, v17, v11
	ds_write_b64 v46, v[0:1] offset:1792
	ds_write_b64 v4, v[5:6] offset:6272
	ds_read_b64 v[0:1], v46 offset:2240
	ds_read_b64 v[5:6], v4 offset:5824
	s_waitcnt lgkmcnt(0)
	v_add_f32_e32 v9, v0, v5
	v_add_f32_e32 v10, v6, v1
	v_sub_f32_e32 v11, v0, v5
	v_sub_f32_e32 v0, v1, v6
	s_waitcnt vmcnt(3)
	v_fma_f32 v12, v11, v16, v9
	v_fma_f32 v1, v10, v16, v0
	v_fma_f32 v5, -v11, v16, v9
	v_fma_f32 v6, v10, v16, -v0
	v_fma_f32 v0, -v15, v10, v12
	v_fmac_f32_e32 v1, v11, v15
	v_fmac_f32_e32 v5, v15, v10
	v_fmac_f32_e32 v6, v11, v15
	ds_write_b64 v46, v[0:1] offset:2240
	ds_write_b64 v4, v[5:6] offset:5824
	ds_read_b64 v[0:1], v46 offset:2688
	ds_read_b64 v[5:6], v4 offset:5376
	s_waitcnt lgkmcnt(0)
	v_add_f32_e32 v9, v0, v5
	v_add_f32_e32 v10, v6, v1
	v_sub_f32_e32 v11, v0, v5
	v_sub_f32_e32 v0, v1, v6
	;; [unrolled: 18-line block ×4, first 2 shown]
	s_waitcnt vmcnt(0)
	v_fma_f32 v10, v9, v3, v7
	v_fma_f32 v1, v8, v3, v0
	v_fma_f32 v5, -v9, v3, v7
	v_fma_f32 v6, v8, v3, -v0
	v_fma_f32 v0, -v2, v8, v10
	v_fmac_f32_e32 v1, v9, v2
	v_fmac_f32_e32 v5, v2, v8
	;; [unrolled: 1-line block ×3, first 2 shown]
	ds_write_b64 v46, v[0:1] offset:3584
	ds_write_b64 v4, v[5:6] offset:4480
	s_waitcnt lgkmcnt(0)
	; wave barrier
	s_waitcnt lgkmcnt(0)
	s_waitcnt lgkmcnt(0)
	; wave barrier
	s_waitcnt lgkmcnt(0)
	ds_read2_b64 v[1:4], v46 offset1:56
	ds_read2_b64 v[5:8], v41 offset0:192 offset1:248
	v_add_u32_e32 v0, 0x400, v46
	s_waitcnt lgkmcnt(0)
	v_sub_f32_e32 v35, v1, v7
	v_sub_f32_e32 v36, v2, v8
	v_fma_f32 v1, v1, 2.0, -v35
	v_fma_f32 v2, v2, 2.0, -v36
	ds_read2_b64 v[7:10], v47 offset0:48 offset1:104
	ds_read2_b64 v[11:14], v46 offset0:112 offset1:168
	;; [unrolled: 1-line block ×7, first 2 shown]
	s_waitcnt lgkmcnt(0)
	; wave barrier
	s_waitcnt lgkmcnt(0)
	ds_write2_b64 v37, v[1:2], v[35:36] offset1:1
	v_sub_f32_e32 v2, v4, v8
	v_sub_f32_e32 v1, v3, v7
	v_fma_f32 v8, v4, 2.0, -v2
	v_add_u32_e32 v4, 56, v40
	v_fma_f32 v7, v3, 2.0, -v1
	v_lshl_add_u32 v3, v4, 4, 0
	ds_write2_b64 v3, v[7:8], v[1:2] offset1:1
	v_sub_f32_e32 v1, v11, v9
	v_sub_f32_e32 v2, v12, v10
	v_fma_f32 v7, v11, 2.0, -v1
	v_fma_f32 v8, v12, 2.0, -v2
	v_lshl_add_u32 v3, v49, 4, 0
	ds_write2_b64 v3, v[7:8], v[1:2] offset1:1
	v_sub_f32_e32 v1, v13, v15
	v_sub_f32_e32 v2, v14, v16
	v_add_u32_e32 v3, 0xa8, v40
	v_fma_f32 v7, v13, 2.0, -v1
	v_fma_f32 v8, v14, 2.0, -v2
	v_lshl_add_u32 v9, v3, 4, 0
	ds_write2_b64 v9, v[7:8], v[1:2] offset1:1
	v_sub_f32_e32 v7, v19, v17
	v_sub_f32_e32 v8, v20, v18
	v_add_u32_e32 v2, 0xe0, v40
	;; [unrolled: 7-line block ×3, first 2 shown]
	v_fma_f32 v9, v21, 2.0, -v7
	v_fma_f32 v10, v22, 2.0, -v8
	v_lshl_add_u32 v11, v1, 4, 0
	ds_write2_b64 v11, v[9:10], v[7:8] offset1:1
	v_sub_f32_e32 v7, v27, v25
	v_sub_f32_e32 v8, v28, v26
	v_fma_f32 v9, v27, 2.0, -v7
	v_fma_f32 v10, v28, 2.0, -v8
	v_lshl_add_u32 v11, v39, 4, 0
	ds_write2_b64 v11, v[9:10], v[7:8] offset1:1
	v_sub_f32_e32 v7, v29, v31
	v_sub_f32_e32 v8, v30, v32
	;; [unrolled: 6-line block ×3, first 2 shown]
	v_fma_f32 v5, v5, 2.0, -v7
	v_fma_f32 v6, v6, 2.0, -v8
	v_lshl_add_u32 v9, v55, 4, 0
	ds_write2_b64 v9, v[5:6], v[7:8] offset1:1
	v_lshlrev_b32_e32 v5, 3, v56
	s_waitcnt lgkmcnt(0)
	; wave barrier
	s_waitcnt lgkmcnt(0)
	global_load_dwordx2 v[37:38], v5, s[8:9]
	ds_read2_b64 v[11:14], v41 offset0:192 offset1:248
	ds_read2_b64 v[5:8], v46 offset1:56
	s_waitcnt vmcnt(0) lgkmcnt(1)
	v_mul_f32_e32 v9, v38, v14
	v_mul_f32_e32 v10, v38, v13
	v_fma_f32 v9, v37, v13, -v9
	v_fmac_f32_e32 v10, v37, v14
	s_waitcnt lgkmcnt(0)
	v_sub_f32_e32 v9, v5, v9
	v_sub_f32_e32 v10, v6, v10
	v_fma_f32 v44, v5, 2.0, -v9
	v_lshlrev_b32_e32 v5, 1, v40
	v_fma_f32 v45, v6, 2.0, -v10
	v_and_or_b32 v6, v5, s4, v56
	v_lshl_add_u32 v6, v6, 3, 0
	ds_read_b64 v[50:51], v46 offset:6272
	ds_read2_b32 v[52:53], v48 offset0:144 offset1:145
	ds_read2_b64 v[13:16], v47 offset0:48 offset1:104
	ds_read2_b64 v[17:20], v46 offset0:112 offset1:168
	;; [unrolled: 1-line block ×6, first 2 shown]
	s_waitcnt lgkmcnt(0)
	; wave barrier
	s_waitcnt lgkmcnt(0)
	ds_write2_b64 v6, v[44:45], v[9:10] offset1:2
	v_mul_f32_e32 v6, v38, v14
	v_fma_f32 v6, v37, v13, -v6
	v_mul_f32_e32 v10, v38, v13
	v_fmac_f32_e32 v10, v37, v14
	v_sub_f32_e32 v9, v7, v6
	s_movk_i32 s4, 0xfc
	v_lshlrev_b32_e32 v6, 1, v4
	v_sub_f32_e32 v10, v8, v10
	v_and_or_b32 v13, v6, s4, v56
	v_fma_f32 v7, v7, 2.0, -v9
	v_fma_f32 v8, v8, 2.0, -v10
	v_lshl_add_u32 v13, v13, 3, 0
	ds_write2_b64 v13, v[7:8], v[9:10] offset1:2
	v_mul_f32_e32 v7, v38, v16
	v_fma_f32 v7, v37, v15, -v7
	v_mul_f32_e32 v9, v38, v15
	v_fmac_f32_e32 v9, v37, v16
	v_sub_f32_e32 v8, v17, v7
	s_movk_i32 s4, 0x1fc
	v_lshlrev_b32_e32 v7, 1, v49
	v_sub_f32_e32 v9, v18, v9
	v_and_or_b32 v10, v7, s4, v56
	v_fma_f32 v13, v17, 2.0, -v8
	v_fma_f32 v14, v18, 2.0, -v9
	v_lshl_add_u32 v10, v10, 3, 0
	ds_write2_b64 v10, v[13:14], v[8:9] offset1:2
	v_mul_f32_e32 v8, v38, v22
	v_fma_f32 v8, v37, v21, -v8
	v_mul_f32_e32 v10, v38, v21
	v_fmac_f32_e32 v10, v37, v22
	v_sub_f32_e32 v9, v19, v8
	v_lshlrev_b32_e32 v8, 1, v3
	v_sub_f32_e32 v10, v20, v10
	v_and_or_b32 v15, v8, s4, v56
	v_fma_f32 v13, v19, 2.0, -v9
	v_fma_f32 v14, v20, 2.0, -v10
	v_lshl_add_u32 v15, v15, 3, 0
	ds_write2_b64 v15, v[13:14], v[9:10] offset1:2
	v_mul_f32_e32 v9, v38, v24
	v_fma_f32 v9, v37, v23, -v9
	v_mul_f32_e32 v10, v38, v23
	v_fmac_f32_e32 v10, v37, v24
	v_sub_f32_e32 v13, v25, v9
	s_movk_i32 s4, 0x3fc
	v_lshlrev_b32_e32 v9, 1, v2
	v_sub_f32_e32 v14, v26, v10
	v_and_or_b32 v10, v9, s4, v56
	v_fma_f32 v15, v25, 2.0, -v13
	v_fma_f32 v16, v26, 2.0, -v14
	v_lshl_add_u32 v10, v10, 3, 0
	ds_write2_b64 v10, v[15:16], v[13:14] offset1:2
	v_mul_f32_e32 v10, v38, v51
	v_fma_f32 v10, v37, v50, -v10
	v_mul_f32_e32 v14, v38, v50
	v_fmac_f32_e32 v14, v37, v51
	v_sub_f32_e32 v13, v27, v10
	v_lshlrev_b32_e32 v10, 1, v1
	v_sub_f32_e32 v14, v28, v14
	v_and_or_b32 v17, v10, s5, v56
	v_fma_f32 v15, v27, 2.0, -v13
	v_fma_f32 v16, v28, 2.0, -v14
	v_lshl_add_u32 v17, v17, 3, 0
	ds_write2_b64 v17, v[15:16], v[13:14] offset1:2
	v_mul_f32_e32 v13, v34, v38
	v_fma_f32 v17, v33, v37, -v13
	v_mul_f32_e32 v13, v36, v38
	v_fma_f32 v19, v35, v37, -v13
	v_mul_f32_e32 v13, v53, v38
	v_mul_f32_e32 v14, v38, v52
	;; [unrolled: 1-line block ×3, first 2 shown]
	v_fma_f32 v13, v37, v52, -v13
	v_fmac_f32_e32 v14, v53, v37
	v_lshlrev_b32_e32 v33, 1, v39
	v_sub_f32_e32 v13, v29, v13
	v_sub_f32_e32 v14, v30, v14
	v_and_or_b32 v21, v33, s4, v56
	v_fma_f32 v15, v29, 2.0, -v13
	v_fma_f32 v16, v30, 2.0, -v14
	v_lshl_add_u32 v21, v21, 3, 0
	ds_write2_b64 v21, v[15:16], v[13:14] offset1:2
	v_sub_f32_e32 v13, v31, v17
	v_fmac_f32_e32 v18, v34, v37
	v_fma_f32 v15, v31, 2.0, -v13
	v_lshlrev_b32_e32 v31, 1, v54
	v_mul_f32_e32 v20, v35, v38
	v_sub_f32_e32 v14, v32, v18
	v_and_or_b32 v17, v31, s4, v56
	v_fmac_f32_e32 v20, v36, v37
	v_fma_f32 v16, v32, 2.0, -v14
	v_lshl_add_u32 v17, v17, 3, 0
	v_lshlrev_b32_e32 v32, 1, v55
	ds_write2_b64 v17, v[15:16], v[13:14] offset1:2
	v_sub_f32_e32 v13, v11, v19
	v_sub_f32_e32 v14, v12, v20
	v_and_or_b32 v15, v32, s4, v56
	v_fma_f32 v11, v11, 2.0, -v13
	v_fma_f32 v12, v12, 2.0, -v14
	v_lshl_add_u32 v15, v15, 3, 0
	v_and_b32_e32 v34, 3, v40
	ds_write2_b64 v15, v[11:12], v[13:14] offset1:2
	v_lshlrev_b32_e32 v11, 3, v34
	s_waitcnt lgkmcnt(0)
	; wave barrier
	s_waitcnt lgkmcnt(0)
	global_load_dwordx2 v[19:20], v11, s[8:9] offset:16
	ds_read2_b64 v[11:14], v47 offset0:48 offset1:104
	s_movk_i32 s4, 0x78
	v_and_or_b32 v59, v5, s4, v34
	v_lshl_add_u32 v59, v59, 3, 0
	s_movk_i32 s4, 0xf8
	s_movk_i32 s5, 0x2f8
	s_waitcnt vmcnt(0) lgkmcnt(0)
	v_mul_f32_e32 v15, v20, v12
	v_fma_f32 v35, v19, v11, -v15
	ds_read2_b64 v[15:18], v47 offset0:160 offset1:216
	v_mul_f32_e32 v36, v20, v11
	v_mul_f32_e32 v11, v20, v14
	v_fma_f32 v37, v19, v13, -v11
	v_mul_f32_e32 v38, v20, v13
	s_waitcnt lgkmcnt(0)
	v_mul_f32_e32 v11, v20, v16
	v_fmac_f32_e32 v36, v19, v12
	v_fmac_f32_e32 v38, v19, v14
	v_fma_f32 v39, v19, v15, -v11
	ds_read2_b64 v[11:14], v48 offset0:16 offset1:72
	v_mul_f32_e32 v44, v20, v15
	v_mul_f32_e32 v15, v20, v18
	v_fma_f32 v45, v19, v17, -v15
	v_mul_f32_e32 v50, v20, v17
	s_waitcnt lgkmcnt(0)
	v_mul_f32_e32 v15, v20, v12
	v_fmac_f32_e32 v44, v19, v16
	v_fmac_f32_e32 v50, v19, v18
	;; [unrolled: 10-line block ×3, first 2 shown]
	v_fma_f32 v55, v15, v19, -v11
	ds_read2_b64 v[11:14], v41 offset0:192 offset1:248
	v_mul_f32_e32 v56, v15, v20
	v_mul_f32_e32 v15, v18, v20
	;; [unrolled: 1-line block ×3, first 2 shown]
	v_fmac_f32_e32 v56, v16, v19
	v_fma_f32 v57, v17, v19, -v15
	v_fmac_f32_e32 v58, v18, v19
	ds_read2_b64 v[15:18], v46 offset1:56
	s_waitcnt lgkmcnt(1)
	v_mul_f32_e32 v21, v20, v14
	v_fma_f32 v21, v19, v13, -v21
	v_mul_f32_e32 v13, v20, v13
	v_fmac_f32_e32 v13, v19, v14
	s_waitcnt lgkmcnt(0)
	v_sub_f32_e32 v27, v15, v21
	v_sub_f32_e32 v28, v16, v13
	v_fma_f32 v29, v15, 2.0, -v27
	v_fma_f32 v30, v16, 2.0, -v28
	ds_read2_b64 v[13:16], v46 offset0:112 offset1:168
	ds_read2_b64 v[19:22], v0 offset0:96 offset1:152
	;; [unrolled: 1-line block ×3, first 2 shown]
	s_waitcnt lgkmcnt(0)
	; wave barrier
	s_waitcnt lgkmcnt(0)
	ds_write2_b64 v59, v[29:30], v[27:28] offset1:4
	v_sub_f32_e32 v27, v17, v35
	v_sub_f32_e32 v28, v18, v36
	v_and_or_b32 v29, v6, s4, v34
	v_fma_f32 v17, v17, 2.0, -v27
	v_fma_f32 v18, v18, 2.0, -v28
	v_lshl_add_u32 v29, v29, 3, 0
	s_movk_i32 s4, 0x1f8
	ds_write2_b64 v29, v[17:18], v[27:28] offset1:4
	v_sub_f32_e32 v17, v13, v37
	v_sub_f32_e32 v18, v14, v38
	v_and_or_b32 v27, v7, s4, v34
	v_fma_f32 v13, v13, 2.0, -v17
	v_fma_f32 v14, v14, 2.0, -v18
	v_lshl_add_u32 v27, v27, 3, 0
	ds_write2_b64 v27, v[13:14], v[17:18] offset1:4
	v_sub_f32_e32 v13, v15, v39
	v_sub_f32_e32 v14, v16, v44
	v_and_or_b32 v17, v8, s4, v34
	v_fma_f32 v15, v15, 2.0, -v13
	v_fma_f32 v16, v16, 2.0, -v14
	v_lshl_add_u32 v17, v17, 3, 0
	s_movk_i32 s4, 0x3f8
	ds_write2_b64 v17, v[15:16], v[13:14] offset1:4
	v_sub_f32_e32 v13, v19, v45
	v_sub_f32_e32 v14, v20, v50
	v_and_or_b32 v17, v9, s4, v34
	v_fma_f32 v15, v19, 2.0, -v13
	v_fma_f32 v16, v20, 2.0, -v14
	v_lshl_add_u32 v17, v17, 3, 0
	ds_write2_b64 v17, v[15:16], v[13:14] offset1:4
	v_sub_f32_e32 v13, v21, v51
	v_sub_f32_e32 v14, v22, v52
	v_and_or_b32 v17, v10, s5, v34
	v_fma_f32 v15, v21, 2.0, -v13
	v_fma_f32 v16, v22, 2.0, -v14
	v_lshl_add_u32 v17, v17, 3, 0
	;; [unrolled: 7-line block ×5, first 2 shown]
	v_and_b32_e32 v34, 7, v40
	ds_write2_b64 v15, v[11:12], v[13:14] offset1:4
	v_lshlrev_b32_e32 v11, 3, v34
	s_waitcnt lgkmcnt(0)
	; wave barrier
	s_waitcnt lgkmcnt(0)
	global_load_dwordx2 v[19:20], v11, s[8:9] offset:48
	ds_read2_b64 v[11:14], v47 offset0:48 offset1:104
	s_movk_i32 s4, 0x70
	v_and_or_b32 v5, v5, s4, v34
	v_lshl_add_u32 v5, v5, 3, 0
	s_movk_i32 s4, 0xf0
	s_movk_i32 s5, 0x2f0
	v_lshrrev_b32_e32 v59, 4, v40
	v_mul_u32_u24_e32 v59, 48, v59
	s_waitcnt vmcnt(0) lgkmcnt(0)
	v_mul_f32_e32 v15, v20, v12
	v_fma_f32 v35, v19, v11, -v15
	ds_read2_b64 v[15:18], v47 offset0:160 offset1:216
	v_mul_f32_e32 v36, v20, v11
	v_mul_f32_e32 v11, v20, v14
	v_fma_f32 v37, v19, v13, -v11
	v_mul_f32_e32 v38, v20, v13
	s_waitcnt lgkmcnt(0)
	v_mul_f32_e32 v11, v20, v16
	v_fmac_f32_e32 v36, v19, v12
	v_fmac_f32_e32 v38, v19, v14
	v_fma_f32 v39, v19, v15, -v11
	ds_read2_b64 v[11:14], v48 offset0:16 offset1:72
	v_mul_f32_e32 v44, v20, v15
	v_mul_f32_e32 v15, v20, v18
	v_fma_f32 v45, v19, v17, -v15
	v_mul_f32_e32 v50, v20, v17
	s_waitcnt lgkmcnt(0)
	v_mul_f32_e32 v15, v20, v12
	v_fmac_f32_e32 v44, v19, v16
	v_fmac_f32_e32 v50, v19, v18
	;; [unrolled: 10-line block ×3, first 2 shown]
	v_fma_f32 v55, v15, v19, -v11
	ds_read2_b64 v[11:14], v41 offset0:192 offset1:248
	v_mul_f32_e32 v56, v15, v20
	v_mul_f32_e32 v15, v18, v20
	;; [unrolled: 1-line block ×3, first 2 shown]
	v_fmac_f32_e32 v56, v16, v19
	v_fma_f32 v57, v17, v19, -v15
	v_fmac_f32_e32 v58, v18, v19
	ds_read2_b64 v[15:18], v46 offset1:56
	s_waitcnt lgkmcnt(1)
	v_mul_f32_e32 v21, v20, v14
	v_fma_f32 v21, v19, v13, -v21
	v_mul_f32_e32 v13, v20, v13
	v_fmac_f32_e32 v13, v19, v14
	s_waitcnt lgkmcnt(0)
	v_sub_f32_e32 v27, v15, v21
	v_sub_f32_e32 v28, v16, v13
	v_fma_f32 v29, v15, 2.0, -v27
	v_fma_f32 v30, v16, 2.0, -v28
	ds_read2_b64 v[13:16], v46 offset0:112 offset1:168
	ds_read2_b64 v[19:22], v0 offset0:96 offset1:152
	;; [unrolled: 1-line block ×3, first 2 shown]
	s_waitcnt lgkmcnt(0)
	; wave barrier
	s_waitcnt lgkmcnt(0)
	ds_write2_b64 v5, v[29:30], v[27:28] offset1:8
	v_sub_f32_e32 v27, v17, v35
	v_sub_f32_e32 v28, v18, v36
	v_and_or_b32 v5, v6, s4, v34
	v_fma_f32 v17, v17, 2.0, -v27
	v_fma_f32 v18, v18, 2.0, -v28
	v_lshl_add_u32 v5, v5, 3, 0
	s_movk_i32 s4, 0x1f0
	ds_write2_b64 v5, v[17:18], v[27:28] offset1:8
	v_sub_f32_e32 v5, v13, v37
	v_sub_f32_e32 v6, v14, v38
	v_and_or_b32 v7, v7, s4, v34
	v_fma_f32 v13, v13, 2.0, -v5
	v_fma_f32 v14, v14, 2.0, -v6
	v_lshl_add_u32 v7, v7, 3, 0
	ds_write2_b64 v7, v[13:14], v[5:6] offset1:8
	v_sub_f32_e32 v5, v15, v39
	v_sub_f32_e32 v6, v16, v44
	v_and_or_b32 v7, v8, s4, v34
	v_fma_f32 v13, v15, 2.0, -v5
	v_fma_f32 v14, v16, 2.0, -v6
	v_lshl_add_u32 v7, v7, 3, 0
	s_movk_i32 s4, 0x3f0
	ds_write2_b64 v7, v[13:14], v[5:6] offset1:8
	v_sub_f32_e32 v5, v19, v45
	v_sub_f32_e32 v6, v20, v50
	v_and_or_b32 v9, v9, s4, v34
	v_fma_f32 v7, v19, 2.0, -v5
	v_fma_f32 v8, v20, 2.0, -v6
	v_lshl_add_u32 v9, v9, 3, 0
	ds_write2_b64 v9, v[7:8], v[5:6] offset1:8
	v_sub_f32_e32 v5, v21, v51
	v_sub_f32_e32 v6, v22, v52
	v_and_or_b32 v9, v10, s5, v34
	v_fma_f32 v7, v21, 2.0, -v5
	v_fma_f32 v8, v22, 2.0, -v6
	v_lshl_add_u32 v9, v9, 3, 0
	;; [unrolled: 7-line block ×5, first 2 shown]
	v_and_b32_e32 v29, 15, v3
	ds_write2_b64 v9, v[7:8], v[5:6] offset1:8
	v_lshlrev_b32_e32 v5, 4, v29
	s_waitcnt lgkmcnt(0)
	; wave barrier
	s_waitcnt lgkmcnt(0)
	global_load_dwordx4 v[9:12], v5, s[8:9] offset:112
	v_and_b32_e32 v30, 15, v40
	v_lshlrev_b32_e32 v5, 4, v30
	global_load_dwordx4 v[13:16], v5, s[8:9] offset:112
	v_and_b32_e32 v31, 15, v1
	v_lshlrev_b32_e32 v7, 4, v31
	v_and_b32_e32 v32, 15, v4
	global_load_dwordx2 v[5:6], v7, s[8:9] offset:120
	global_load_dwordx2 v[25:26], v7, s[8:9] offset:116
	;; [unrolled: 1-line block ×3, first 2 shown]
	v_lshlrev_b32_e32 v8, 4, v32
	global_load_dword v33, v8, s[8:9] offset:112
	global_load_dword v34, v7, s[8:9] offset:124
	v_add_u32_e32 v8, 0xc00, v46
	ds_read2_b64 v[17:20], v8 offset0:120 offset1:176
	ds_read2_b64 v[21:24], v48 offset0:72 offset1:128
	v_add_u32_e32 v50, 0x1400, v46
	v_or_b32_e32 v59, v59, v30
	v_lshl_add_u32 v59, v59, 3, 0
	s_movk_i32 s4, 0xab
	s_waitcnt vmcnt(6) lgkmcnt(1)
	v_mul_f32_e32 v7, v18, v10
	v_mul_f32_e32 v36, v17, v10
	v_fma_f32 v35, v17, v9, -v7
	v_fmac_f32_e32 v36, v18, v9
	ds_read2_b32 v[17:18], v8 offset0:128 offset1:129
	s_waitcnt lgkmcnt(1)
	v_mul_f32_e32 v7, v22, v12
	v_fma_f32 v37, v21, v11, -v7
	s_waitcnt vmcnt(5)
	v_mul_f32_e32 v7, v20, v14
	v_mul_f32_e32 v38, v21, v12
	v_fma_f32 v39, v19, v13, -v7
	v_mul_f32_e32 v7, v24, v16
	v_fmac_f32_e32 v38, v22, v11
	v_mul_f32_e32 v44, v19, v14
	v_fma_f32 v45, v23, v15, -v7
	ds_read2_b64 v[9:12], v41 offset0:80 offset1:136
	s_waitcnt lgkmcnt(1)
	v_mul_f32_e32 v7, v18, v14
	v_mul_f32_e32 v53, v14, v17
	v_fmac_f32_e32 v44, v20, v13
	v_mul_f32_e32 v51, v23, v16
	v_fma_f32 v52, v13, v17, -v7
	v_fmac_f32_e32 v53, v18, v13
	ds_read2_b64 v[17:20], v47 offset0:104 offset1:160
	v_fmac_f32_e32 v51, v24, v15
	ds_read2_b64 v[21:24], v50 offset0:88 offset1:144
	s_waitcnt lgkmcnt(2)
	v_mul_f32_e32 v7, v14, v10
	v_fma_f32 v54, v13, v9, -v7
	v_mul_f32_e32 v9, v14, v9
	s_waitcnt lgkmcnt(1)
	v_mul_f32_e32 v7, v16, v20
	v_fmac_f32_e32 v9, v13, v10
	v_fma_f32 v10, v15, v19, -v7
	v_mul_f32_e32 v19, v16, v19
	s_waitcnt lgkmcnt(0)
	v_mul_f32_e32 v7, v24, v16
	v_mul_f32_e32 v56, v23, v16
	v_fmac_f32_e32 v19, v15, v20
	v_fma_f32 v55, v23, v15, -v7
	v_fmac_f32_e32 v56, v24, v15
	ds_read2_b64 v[13:16], v46 offset1:56
	s_waitcnt vmcnt(4)
	v_mul_f32_e32 v7, v6, v22
	v_mul_f32_e32 v58, v6, v21
	s_waitcnt vmcnt(3)
	v_mul_f32_e32 v6, v18, v25
	v_mul_f32_e32 v25, v17, v25
	v_fma_f32 v57, v26, v21, -v7
	v_fmac_f32_e32 v58, v26, v22
	s_waitcnt vmcnt(2)
	v_fma_f32 v26, v17, v27, -v6
	v_fmac_f32_e32 v25, v18, v27
	v_mul_f32_e32 v6, v28, v12
	v_mul_f32_e32 v27, v28, v11
	s_waitcnt vmcnt(1)
	v_fma_f32 v28, v33, v11, -v6
	v_fmac_f32_e32 v27, v33, v12
	s_waitcnt lgkmcnt(0)
	v_add_f32_e32 v7, v14, v9
	v_sub_f32_e32 v33, v9, v19
	v_add_f32_e32 v9, v9, v19
	v_add_f32_e32 v11, v54, v10
	v_add_f32_e32 v6, v13, v54
	v_fma_f32 v13, -0.5, v11, v13
	v_fma_f32 v14, -0.5, v9, v14
	v_sub_f32_e32 v54, v54, v10
	v_mov_b32_e32 v21, v13
	v_mov_b32_e32 v22, v14
	v_add_f32_e32 v6, v6, v10
	v_add_f32_e32 v7, v7, v19
	v_fmac_f32_e32 v21, 0x3f5db3d7, v33
	v_fmac_f32_e32 v22, 0xbf5db3d7, v54
	;; [unrolled: 1-line block ×4, first 2 shown]
	ds_read_b64 v[23:24], v46 offset:7616
	ds_read2_b64 v[9:12], v46 offset0:112 offset1:168
	ds_read2_b64 v[17:20], v0 offset0:96 offset1:152
	s_waitcnt lgkmcnt(0)
	; wave barrier
	s_waitcnt lgkmcnt(0)
	ds_write2_b64 v59, v[6:7], v[21:22] offset1:16
	ds_write_b64 v59, v[13:14] offset:256
	v_add_f32_e32 v7, v28, v57
	v_add_f32_e32 v13, v27, v58
	;; [unrolled: 1-line block ×3, first 2 shown]
	v_fma_f32 v15, -0.5, v7, v15
	v_add_f32_e32 v7, v16, v27
	v_fmac_f32_e32 v16, -0.5, v13
	v_lshrrev_b32_e32 v13, 4, v4
	v_mul_u32_u24_e32 v13, 48, v13
	v_sub_f32_e32 v21, v27, v58
	v_sub_f32_e32 v22, v28, v57
	v_or_b32_e32 v27, v13, v32
	v_mov_b32_e32 v13, v15
	v_mov_b32_e32 v14, v16
	v_add_f32_e32 v6, v6, v57
	v_add_f32_e32 v7, v7, v58
	v_fmac_f32_e32 v13, 0x3f5db3d7, v21
	v_fmac_f32_e32 v14, 0xbf5db3d7, v22
	v_lshl_add_u32 v27, v27, 3, 0
	ds_write2_b64 v27, v[6:7], v[13:14] offset1:16
	v_fmac_f32_e32 v15, 0xbf5db3d7, v21
	v_add_f32_e32 v13, v53, v56
	v_add_f32_e32 v14, v52, v55
	v_lshrrev_b32_e32 v21, 4, v49
	v_fmac_f32_e32 v16, 0x3f5db3d7, v22
	v_add_f32_e32 v6, v9, v52
	v_add_f32_e32 v7, v10, v53
	v_fma_f32 v9, -0.5, v14, v9
	v_fma_f32 v10, -0.5, v13, v10
	v_mul_u32_u24_e32 v21, 48, v21
	ds_write_b64 v27, v[15:16] offset:256
	v_sub_f32_e32 v15, v53, v56
	v_sub_f32_e32 v16, v52, v55
	v_mov_b32_e32 v13, v9
	v_mov_b32_e32 v14, v10
	v_or_b32_e32 v21, v21, v30
	v_add_f32_e32 v6, v6, v55
	v_add_f32_e32 v7, v7, v56
	v_fmac_f32_e32 v13, 0x3f5db3d7, v15
	v_fmac_f32_e32 v14, 0xbf5db3d7, v16
	v_lshl_add_u32 v21, v21, 3, 0
	v_fmac_f32_e32 v9, 0xbf5db3d7, v15
	v_fmac_f32_e32 v10, 0x3f5db3d7, v16
	ds_write2_b64 v21, v[6:7], v[13:14] offset1:16
	ds_write_b64 v21, v[9:10] offset:256
	v_add_f32_e32 v7, v35, v37
	v_add_f32_e32 v9, v36, v38
	v_add_f32_e32 v6, v11, v35
	v_fma_f32 v11, -0.5, v7, v11
	v_add_f32_e32 v7, v12, v36
	v_fmac_f32_e32 v12, -0.5, v9
	v_lshrrev_b32_e32 v9, 4, v3
	v_mul_u32_u24_e32 v9, 48, v9
	v_sub_f32_e32 v13, v36, v38
	v_sub_f32_e32 v14, v35, v37
	v_or_b32_e32 v15, v9, v29
	v_mov_b32_e32 v9, v11
	v_mov_b32_e32 v10, v12
	v_add_f32_e32 v6, v6, v37
	v_add_f32_e32 v7, v7, v38
	v_fmac_f32_e32 v9, 0x3f5db3d7, v13
	v_fmac_f32_e32 v10, 0xbf5db3d7, v14
	v_lshl_add_u32 v15, v15, 3, 0
	v_fmac_f32_e32 v11, 0xbf5db3d7, v13
	v_fmac_f32_e32 v12, 0x3f5db3d7, v14
	ds_write2_b64 v15, v[6:7], v[9:10] offset1:16
	ds_write_b64 v15, v[11:12] offset:256
	v_add_f32_e32 v10, v44, v51
	v_add_f32_e32 v9, v39, v45
	v_lshrrev_b32_e32 v11, 4, v2
	s_waitcnt vmcnt(0)
	v_mul_f32_e32 v6, v24, v34
	v_mul_f32_e32 v13, v23, v34
	v_fma_f32 v9, -0.5, v9, v17
	v_fma_f32 v10, -0.5, v10, v18
	v_mul_u32_u24_e32 v11, 48, v11
	v_fma_f32 v7, v23, v5, -v6
	v_fmac_f32_e32 v13, v24, v5
	v_add_f32_e32 v5, v17, v39
	v_add_f32_e32 v6, v18, v44
	v_sub_f32_e32 v14, v44, v51
	v_sub_f32_e32 v15, v39, v45
	v_or_b32_e32 v16, v11, v30
	v_mov_b32_e32 v11, v9
	v_mov_b32_e32 v12, v10
	v_add_f32_e32 v5, v5, v45
	v_add_f32_e32 v6, v6, v51
	v_fmac_f32_e32 v11, 0x3f5db3d7, v14
	v_fmac_f32_e32 v12, 0xbf5db3d7, v15
	v_lshl_add_u32 v16, v16, 3, 0
	v_fmac_f32_e32 v9, 0xbf5db3d7, v14
	v_fmac_f32_e32 v10, 0x3f5db3d7, v15
	ds_write2_b64 v16, v[5:6], v[11:12] offset1:16
	ds_write_b64 v16, v[9:10] offset:256
	v_add_f32_e32 v6, v26, v7
	v_add_f32_e32 v9, v25, v13
	;; [unrolled: 1-line block ×3, first 2 shown]
	v_fma_f32 v19, -0.5, v6, v19
	v_add_f32_e32 v6, v20, v25
	v_fmac_f32_e32 v20, -0.5, v9
	v_lshrrev_b32_e32 v9, 4, v1
	v_mul_u32_u24_e32 v9, 48, v9
	v_add_f32_e32 v5, v5, v7
	v_sub_f32_e32 v11, v25, v13
	v_sub_f32_e32 v7, v26, v7
	v_or_b32_e32 v12, v9, v31
	v_mov_b32_e32 v9, v19
	v_mov_b32_e32 v10, v20
	v_add_f32_e32 v6, v6, v13
	v_fmac_f32_e32 v9, 0x3f5db3d7, v11
	v_fmac_f32_e32 v10, 0xbf5db3d7, v7
	v_lshl_add_u32 v12, v12, 3, 0
	ds_write2_b64 v12, v[5:6], v[9:10] offset1:16
	v_subrev_u32_e32 v5, 48, v40
	v_cndmask_b32_e32 v37, v5, v40, vcc
	v_lshlrev_b32_e32 v5, 1, v37
	v_mov_b32_e32 v6, 0
	v_lshlrev_b64 v[5:6], 3, v[5:6]
	v_fmac_f32_e32 v20, 0x3f5db3d7, v7
	v_mov_b32_e32 v7, s9
	v_add_co_u32_e32 v5, vcc, s8, v5
	v_fmac_f32_e32 v19, 0xbf5db3d7, v11
	v_addc_co_u32_e32 v6, vcc, v7, v6, vcc
	ds_write_b64 v12, v[19:20] offset:256
	s_waitcnt lgkmcnt(0)
	; wave barrier
	s_waitcnt lgkmcnt(0)
	global_load_dwordx4 v[9:12], v[5:6], off offset:368
	v_mul_lo_u16_sdwa v5, v4, s4 dst_sel:DWORD dst_unused:UNUSED_PAD src0_sel:BYTE_0 src1_sel:DWORD
	v_lshrrev_b16_e32 v38, 13, v5
	v_mul_lo_u16_e32 v5, 48, v38
	v_sub_u16_e32 v39, v4, v5
	v_mov_b32_e32 v17, 4
	v_lshlrev_b32_sdwa v4, v17, v39 dst_sel:DWORD dst_unused:UNUSED_PAD src0_sel:DWORD src1_sel:BYTE_0
	global_load_dwordx4 v[4:7], v4, s[8:9] offset:368
	v_mul_lo_u16_sdwa v13, v49, s4 dst_sel:DWORD dst_unused:UNUSED_PAD src0_sel:BYTE_0 src1_sel:DWORD
	v_mul_lo_u16_sdwa v18, v3, s4 dst_sel:DWORD dst_unused:UNUSED_PAD src0_sel:BYTE_0 src1_sel:DWORD
	v_lshrrev_b16_e32 v44, 13, v13
	v_lshrrev_b16_e32 v51, 13, v18
	v_mul_lo_u16_e32 v13, 48, v44
	v_mul_lo_u16_e32 v18, 48, v51
	v_sub_u16_e32 v45, v49, v13
	v_sub_u16_e32 v52, v3, v18
	v_lshlrev_b32_sdwa v13, v17, v45 dst_sel:DWORD dst_unused:UNUSED_PAD src0_sel:DWORD src1_sel:BYTE_0
	v_lshlrev_b32_sdwa v3, v17, v52 dst_sel:DWORD dst_unused:UNUSED_PAD src0_sel:DWORD src1_sel:BYTE_0
	s_mov_b32 s4, 0xaaab
	global_load_dwordx4 v[13:16], v13, s[8:9] offset:368
	v_cmp_lt_u32_e32 vcc, 47, v40
	global_load_dwordx4 v[17:20], v3, s[8:9] offset:368
	v_mul_u32_u24_sdwa v3, v2, s4 dst_sel:DWORD dst_unused:UNUSED_PAD src0_sel:WORD_0 src1_sel:DWORD
	v_lshrrev_b32_e32 v53, 21, v3
	v_mul_lo_u16_e32 v3, 48, v53
	v_sub_u16_e32 v54, v2, v3
	v_lshlrev_b32_e32 v2, 4, v54
	global_load_dwordx4 v[21:24], v2, s[8:9] offset:368
	v_mul_u32_u24_sdwa v2, v1, s4 dst_sel:DWORD dst_unused:UNUSED_PAD src0_sel:WORD_0 src1_sel:DWORD
	v_lshrrev_b32_e32 v55, 21, v2
	v_mul_lo_u16_e32 v2, 48, v55
	v_sub_u16_e32 v56, v1, v2
	v_lshlrev_b32_e32 v1, 4, v56
	global_load_dwordx4 v[25:28], v1, s[8:9] offset:368
	ds_read2_b64 v[29:32], v41 offset0:80 offset1:136
	ds_read2_b64 v[33:36], v47 offset0:160 offset1:216
	s_waitcnt vmcnt(5) lgkmcnt(1)
	v_mul_f32_e32 v1, v10, v30
	v_fma_f32 v57, v9, v29, -v1
	v_mul_f32_e32 v29, v10, v29
	s_waitcnt lgkmcnt(0)
	v_mul_f32_e32 v1, v12, v34
	v_fmac_f32_e32 v29, v9, v30
	v_fma_f32 v30, v11, v33, -v1
	v_mul_f32_e32 v33, v12, v33
	s_waitcnt vmcnt(4)
	v_mul_f32_e32 v1, v5, v32
	v_fmac_f32_e32 v33, v11, v34
	v_fma_f32 v34, v4, v31, -v1
	v_mul_f32_e32 v31, v5, v31
	v_fmac_f32_e32 v31, v4, v32
	ds_read2_b64 v[1:4], v41 offset0:192 offset1:248
	ds_read2_b64 v[9:12], v48 offset0:16 offset1:72
	v_mul_f32_e32 v5, v7, v36
	v_fma_f32 v32, v6, v35, -v5
	v_mul_f32_e32 v35, v7, v35
	v_fmac_f32_e32 v35, v6, v36
	s_waitcnt vmcnt(3) lgkmcnt(1)
	v_mul_f32_e32 v5, v2, v14
	v_fma_f32 v36, v1, v13, -v5
	v_mul_f32_e32 v58, v1, v14
	s_waitcnt lgkmcnt(0)
	v_mul_f32_e32 v1, v10, v16
	v_fma_f32 v59, v9, v15, -v1
	s_waitcnt vmcnt(2)
	v_mul_f32_e32 v1, v4, v18
	v_mul_f32_e32 v18, v3, v18
	v_fmac_f32_e32 v58, v2, v13
	v_mul_f32_e32 v60, v9, v16
	v_fma_f32 v61, v3, v17, -v1
	v_fmac_f32_e32 v18, v4, v17
	v_mul_f32_e32 v5, v12, v20
	ds_read2_b64 v[1:4], v47 offset0:48 offset1:104
	v_mul_f32_e32 v20, v11, v20
	v_fmac_f32_e32 v60, v10, v15
	v_fma_f32 v17, v11, v19, -v5
	v_fmac_f32_e32 v20, v12, v19
	ds_read2_b64 v[9:12], v48 offset0:128 offset1:184
	s_waitcnt vmcnt(1) lgkmcnt(1)
	v_mul_f32_e32 v5, v2, v22
	v_fma_f32 v19, v1, v21, -v5
	v_mul_f32_e32 v22, v1, v22
	v_fmac_f32_e32 v22, v2, v21
	s_waitcnt lgkmcnt(0)
	v_mul_f32_e32 v1, v10, v24
	v_fma_f32 v21, v9, v23, -v1
	v_mul_f32_e32 v24, v9, v24
	s_waitcnt vmcnt(0)
	v_mul_f32_e32 v1, v4, v26
	v_mul_f32_e32 v26, v3, v26
	v_fmac_f32_e32 v24, v10, v23
	v_fma_f32 v23, v3, v25, -v1
	v_fmac_f32_e32 v26, v4, v25
	ds_read2_b64 v[2:5], v46 offset1:56
	v_mul_f32_e32 v1, v12, v28
	v_fma_f32 v25, v11, v27, -v1
	v_add_f32_e32 v9, v57, v30
	v_mul_f32_e32 v28, v11, v28
	s_waitcnt lgkmcnt(0)
	v_add_f32_e32 v1, v2, v57
	v_add_f32_e32 v6, v1, v30
	;; [unrolled: 1-line block ×5, first 2 shown]
	v_fma_f32 v13, -0.5, v9, v2
	v_fma_f32 v14, -0.5, v1, v3
	v_mov_b32_e32 v1, 0x480
	v_fmac_f32_e32 v28, v12, v27
	v_sub_f32_e32 v27, v29, v33
	v_sub_f32_e32 v29, v57, v30
	v_cndmask_b32_e32 v1, 0, v1, vcc
	v_lshlrev_b32_e32 v2, 3, v37
	v_mov_b32_e32 v15, v13
	v_mov_b32_e32 v16, v14
	v_add3_u32 v30, 0, v1, v2
	v_fmac_f32_e32 v15, 0x3f5db3d7, v27
	v_fmac_f32_e32 v16, 0xbf5db3d7, v29
	;; [unrolled: 1-line block ×4, first 2 shown]
	ds_read2_b64 v[0:3], v0 offset0:96 offset1:152
	ds_read2_b64 v[9:12], v46 offset0:112 offset1:168
	s_waitcnt lgkmcnt(0)
	; wave barrier
	s_waitcnt lgkmcnt(0)
	ds_write2_b64 v30, v[6:7], v[15:16] offset1:48
	ds_write_b64 v30, v[13:14] offset:768
	v_add_f32_e32 v7, v34, v32
	v_add_f32_e32 v13, v31, v35
	v_mov_b32_e32 v27, 3
	v_add_f32_e32 v6, v4, v34
	v_fma_f32 v4, -0.5, v7, v4
	v_add_f32_e32 v7, v5, v31
	v_fmac_f32_e32 v5, -0.5, v13
	v_mul_u32_u24_e32 v13, 0x480, v38
	v_lshlrev_b32_sdwa v14, v27, v39 dst_sel:DWORD dst_unused:UNUSED_PAD src0_sel:DWORD src1_sel:BYTE_0
	v_sub_f32_e32 v15, v31, v35
	v_sub_f32_e32 v16, v34, v32
	v_add3_u32 v29, 0, v13, v14
	v_mov_b32_e32 v13, v4
	v_mov_b32_e32 v14, v5
	v_add_f32_e32 v6, v6, v32
	v_add_f32_e32 v7, v7, v35
	v_fmac_f32_e32 v13, 0x3f5db3d7, v15
	v_fmac_f32_e32 v14, 0xbf5db3d7, v16
	ds_write2_b64 v29, v[6:7], v[13:14] offset1:48
	v_fmac_f32_e32 v4, 0xbf5db3d7, v15
	v_fmac_f32_e32 v5, 0x3f5db3d7, v16
	v_add_f32_e32 v7, v58, v60
	v_add_f32_e32 v6, v36, v59
	ds_write_b64 v29, v[4:5] offset:768
	v_add_f32_e32 v4, v9, v36
	v_add_f32_e32 v5, v10, v58
	v_fma_f32 v6, -0.5, v6, v9
	v_fma_f32 v7, -0.5, v7, v10
	v_mul_u32_u24_e32 v9, 0x480, v44
	v_lshlrev_b32_sdwa v10, v27, v45 dst_sel:DWORD dst_unused:UNUSED_PAD src0_sel:DWORD src1_sel:BYTE_0
	v_sub_f32_e32 v13, v58, v60
	v_sub_f32_e32 v14, v36, v59
	v_add3_u32 v15, 0, v9, v10
	v_mov_b32_e32 v9, v6
	v_mov_b32_e32 v10, v7
	v_add_f32_e32 v4, v4, v59
	v_add_f32_e32 v5, v5, v60
	v_fmac_f32_e32 v9, 0x3f5db3d7, v13
	v_fmac_f32_e32 v10, 0xbf5db3d7, v14
	;; [unrolled: 1-line block ×4, first 2 shown]
	ds_write2_b64 v15, v[4:5], v[9:10] offset1:48
	ds_write_b64 v15, v[6:7] offset:768
	v_add_f32_e32 v5, v61, v17
	v_add_f32_e32 v6, v18, v20
	;; [unrolled: 1-line block ×3, first 2 shown]
	v_fma_f32 v11, -0.5, v5, v11
	v_add_f32_e32 v5, v12, v18
	v_fmac_f32_e32 v12, -0.5, v6
	v_lshlrev_b32_sdwa v6, v27, v52 dst_sel:DWORD dst_unused:UNUSED_PAD src0_sel:DWORD src1_sel:BYTE_0
	v_mul_u32_u24_e32 v7, 0x480, v51
	v_sub_f32_e32 v9, v18, v20
	v_sub_f32_e32 v10, v61, v17
	v_add3_u32 v13, 0, v7, v6
	v_mov_b32_e32 v6, v11
	v_mov_b32_e32 v7, v12
	v_add_f32_e32 v4, v4, v17
	v_add_f32_e32 v5, v5, v20
	v_fmac_f32_e32 v6, 0x3f5db3d7, v9
	v_fmac_f32_e32 v7, 0xbf5db3d7, v10
	ds_write2_b64 v13, v[4:5], v[6:7] offset1:48
	v_add_f32_e32 v4, v0, v19
	v_add_f32_e32 v6, v4, v21
	;; [unrolled: 1-line block ×6, first 2 shown]
	v_fmac_f32_e32 v11, 0xbf5db3d7, v9
	v_fmac_f32_e32 v12, 0x3f5db3d7, v10
	v_fma_f32 v4, -0.5, v4, v0
	v_fma_f32 v5, -0.5, v5, v1
	v_mul_u32_u24_e32 v0, 0x480, v53
	v_lshlrev_b32_e32 v1, 3, v54
	ds_write_b64 v13, v[11:12] offset:768
	v_sub_f32_e32 v9, v22, v24
	v_sub_f32_e32 v10, v19, v21
	v_add3_u32 v11, 0, v0, v1
	v_mov_b32_e32 v0, v4
	v_mov_b32_e32 v1, v5
	v_fmac_f32_e32 v0, 0x3f5db3d7, v9
	v_fmac_f32_e32 v1, 0xbf5db3d7, v10
	ds_write2_b64 v11, v[6:7], v[0:1] offset1:48
	v_add_f32_e32 v0, v2, v23
	v_add_f32_e32 v6, v0, v25
	;; [unrolled: 1-line block ×3, first 2 shown]
	v_fma_f32 v2, -0.5, v0, v2
	v_mov_b32_e32 v0, v2
	v_sub_f32_e32 v1, v26, v28
	v_fmac_f32_e32 v0, 0x3f5db3d7, v1
	v_fmac_f32_e32 v2, 0xbf5db3d7, v1
	v_add_f32_e32 v1, v3, v26
	v_add_f32_e32 v7, v1, v28
	;; [unrolled: 1-line block ×3, first 2 shown]
	v_fmac_f32_e32 v3, -0.5, v1
	v_fmac_f32_e32 v4, 0xbf5db3d7, v9
	v_sub_f32_e32 v9, v23, v25
	v_mov_b32_e32 v1, v3
	v_fmac_f32_e32 v5, 0x3f5db3d7, v10
	v_fmac_f32_e32 v1, 0xbf5db3d7, v9
	;; [unrolled: 1-line block ×3, first 2 shown]
	v_mul_u32_u24_e32 v9, 0x480, v55
	v_lshlrev_b32_e32 v10, 3, v56
	v_add3_u32 v9, 0, v9, v10
	ds_write_b64 v11, v[4:5] offset:768
	ds_write2_b64 v9, v[6:7], v[0:1] offset1:48
	ds_write_b64 v9, v[2:3] offset:768
	s_waitcnt lgkmcnt(0)
	; wave barrier
	s_waitcnt lgkmcnt(0)
	ds_read2_b64 v[12:15], v46 offset1:56
	ds_read2_b64 v[36:39], v46 offset0:144 offset1:200
	ds_read2_b64 v[32:35], v41 offset0:32 offset1:88
	;; [unrolled: 1-line block ×6, first 2 shown]
	v_cmp_gt_u32_e32 vcc, 32, v40
                                        ; implicit-def: $vgpr45
                                        ; implicit-def: $vgpr9
	s_and_saveexec_b64 s[4:5], vcc
	s_cbranch_execz .LBB0_19
; %bb.18:
	v_add_u32_e32 v0, 0x200, v46
	ds_read2_b64 v[4:7], v0 offset0:48 offset1:192
	ds_read2_b64 v[0:3], v8 offset0:16 offset1:160
	;; [unrolled: 1-line block ×3, first 2 shown]
	ds_read_b64 v[44:45], v46 offset:7808
.LBB0_19:
	s_or_b64 exec, exec, s[4:5]
	v_mul_u32_u24_e32 v51, 6, v40
	v_lshlrev_b32_e32 v63, 3, v51
	global_load_dwordx4 v[51:54], v63, s[8:9] offset:1136
	global_load_dwordx4 v[55:58], v63, s[8:9] offset:3824
	;; [unrolled: 1-line block ×3, first 2 shown]
	s_mov_b32 s6, 0x3f5ff5aa
	s_mov_b32 s7, 0x3f3bfb3b
	;; [unrolled: 1-line block ×4, first 2 shown]
	s_waitcnt vmcnt(2) lgkmcnt(5)
	v_mul_f32_e32 v64, v52, v37
	v_mul_f32_e32 v65, v52, v36
	s_waitcnt lgkmcnt(4)
	v_mul_f32_e32 v52, v54, v33
	v_mul_f32_e32 v66, v54, v32
	s_waitcnt vmcnt(1)
	v_mul_f32_e32 v54, v56, v39
	v_mul_f32_e32 v56, v56, v38
	v_fma_f32 v64, v51, v36, -v64
	v_fmac_f32_e32 v65, v51, v37
	v_fma_f32 v67, v53, v32, -v52
	v_fma_f32 v68, v55, v38, -v54
	v_fmac_f32_e32 v56, v55, v39
	global_load_dwordx4 v[36:39], v63, s[8:9] offset:3840
	v_mul_f32_e32 v32, v58, v35
	v_mul_f32_e32 v55, v58, v34
	v_fmac_f32_e32 v66, v53, v33
	v_fma_f32 v58, v57, v34, -v32
	v_fmac_f32_e32 v55, v57, v35
	global_load_dwordx4 v[32:35], v63, s[8:9] offset:1168
	s_waitcnt vmcnt(2) lgkmcnt(3)
	v_mul_f32_e32 v51, v60, v29
	s_waitcnt lgkmcnt(2)
	v_mul_f32_e32 v52, v62, v25
	v_mul_f32_e32 v57, v60, v28
	;; [unrolled: 1-line block ×3, first 2 shown]
	v_fma_f32 v28, v59, v28, -v51
	v_fma_f32 v24, v61, v24, -v52
	global_load_dwordx4 v[51:54], v63, s[8:9] offset:3856
	v_fmac_f32_e32 v57, v59, v29
	v_fmac_f32_e32 v60, v61, v25
	s_waitcnt lgkmcnt(0)
	; wave barrier
	s_waitcnt vmcnt(2) lgkmcnt(0)
	v_mul_f32_e32 v25, v31, v37
	v_mul_f32_e32 v29, v30, v37
	v_fma_f32 v30, v30, v36, -v25
	v_fmac_f32_e32 v29, v31, v36
	v_mul_f32_e32 v36, v26, v39
	v_fmac_f32_e32 v36, v27, v38
	s_waitcnt vmcnt(1)
	v_mul_f32_e32 v25, v33, v21
	v_mul_f32_e32 v31, v33, v20
	;; [unrolled: 1-line block ×3, first 2 shown]
	v_fma_f32 v33, v26, v38, -v33
	v_mul_f32_e32 v26, v35, v17
	v_mul_f32_e32 v27, v35, v16
	v_fma_f32 v20, v32, v20, -v25
	v_fma_f32 v16, v34, v16, -v26
	s_waitcnt vmcnt(0)
	v_mul_f32_e32 v35, v23, v52
	v_mul_f32_e32 v38, v19, v54
	v_fmac_f32_e32 v31, v32, v21
	v_fmac_f32_e32 v27, v34, v17
	v_add_f32_e32 v17, v64, v16
	v_add_f32_e32 v21, v67, v20
	v_mul_f32_e32 v37, v22, v52
	v_mul_f32_e32 v39, v18, v54
	v_fma_f32 v32, v22, v51, -v35
	v_fma_f32 v34, v18, v53, -v38
	v_add_f32_e32 v18, v65, v27
	v_add_f32_e32 v22, v66, v31
	;; [unrolled: 1-line block ×3, first 2 shown]
	v_sub_f32_e32 v24, v24, v28
	v_add_f32_e32 v28, v21, v17
	v_fmac_f32_e32 v37, v23, v51
	v_sub_f32_e32 v23, v66, v31
	v_add_f32_e32 v26, v57, v60
	v_add_f32_e32 v31, v22, v18
	v_sub_f32_e32 v35, v21, v17
	v_sub_f32_e32 v17, v17, v25
	;; [unrolled: 1-line block ×3, first 2 shown]
	v_add_f32_e32 v25, v25, v28
	v_fmac_f32_e32 v39, v19, v53
	v_sub_f32_e32 v16, v64, v16
	v_sub_f32_e32 v19, v65, v27
	;; [unrolled: 1-line block ×7, first 2 shown]
	v_add_f32_e32 v26, v26, v31
	v_add_f32_e32 v12, v12, v25
	;; [unrolled: 1-line block ×4, first 2 shown]
	v_sub_f32_e32 v53, v24, v20
	v_sub_f32_e32 v54, v27, v23
	;; [unrolled: 1-line block ×4, first 2 shown]
	v_add_f32_e32 v13, v13, v26
	v_mov_b32_e32 v57, v12
	v_sub_f32_e32 v24, v16, v24
	v_sub_f32_e32 v27, v19, v27
	v_add_f32_e32 v16, v51, v16
	v_add_f32_e32 v19, v52, v19
	v_mul_f32_e32 v17, 0x3f4a47b2, v17
	v_mul_f32_e32 v18, 0x3f4a47b2, v18
	;; [unrolled: 1-line block ×8, first 2 shown]
	v_fmac_f32_e32 v57, 0xbf955555, v25
	v_mov_b32_e32 v25, v13
	v_fmac_f32_e32 v25, 0xbf955555, v26
	v_fma_f32 v26, v35, s7, -v28
	v_fma_f32 v28, v38, s7, -v31
	;; [unrolled: 1-line block ×3, first 2 shown]
	v_fmac_f32_e32 v17, 0x3d64c772, v21
	v_fma_f32 v21, v38, s10, -v18
	v_fmac_f32_e32 v18, 0x3d64c772, v22
	v_fma_f32 v35, v20, s6, -v51
	;; [unrolled: 2-line block ×3, first 2 shown]
	v_fma_f32 v24, v27, s11, -v54
	v_fma_f32 v22, v23, s6, -v52
	v_fmac_f32_e32 v52, 0x3eae86e6, v27
	v_add_f32_e32 v53, v18, v25
	v_add_f32_e32 v23, v26, v57
	;; [unrolled: 1-line block ×5, first 2 shown]
	v_fmac_f32_e32 v38, 0x3ee1c552, v16
	v_fmac_f32_e32 v24, 0x3ee1c552, v19
	v_add_f32_e32 v27, v17, v57
	v_fmac_f32_e32 v51, 0x3ee1c552, v16
	v_fmac_f32_e32 v52, 0x3ee1c552, v19
	;; [unrolled: 1-line block ×4, first 2 shown]
	v_add_f32_e32 v18, v24, v28
	v_sub_f32_e32 v19, v25, v38
	v_sub_f32_e32 v24, v28, v24
	v_add_f32_e32 v25, v38, v25
	v_add_f32_e32 v28, v68, v34
	;; [unrolled: 1-line block ×4, first 2 shown]
	v_sub_f32_e32 v17, v53, v51
	v_sub_f32_e32 v20, v23, v22
	v_add_f32_e32 v21, v35, v26
	v_add_f32_e32 v22, v22, v23
	v_sub_f32_e32 v23, v26, v35
	v_sub_f32_e32 v26, v27, v52
	v_add_f32_e32 v27, v51, v53
	v_add_f32_e32 v31, v56, v39
	v_sub_f32_e32 v35, v56, v39
	v_add_f32_e32 v39, v55, v37
	v_add_f32_e32 v51, v30, v33
	;; [unrolled: 3-line block ×4, first 2 shown]
	v_sub_f32_e32 v34, v68, v34
	v_sub_f32_e32 v32, v58, v32
	;; [unrolled: 1-line block ×3, first 2 shown]
	v_add_f32_e32 v36, v52, v36
	v_add_f32_e32 v14, v14, v33
	v_sub_f32_e32 v53, v38, v28
	v_sub_f32_e32 v54, v39, v31
	v_sub_f32_e32 v28, v28, v51
	v_sub_f32_e32 v31, v31, v52
	v_sub_f32_e32 v38, v51, v38
	v_sub_f32_e32 v39, v52, v39
	v_add_f32_e32 v55, v30, v32
	v_add_f32_e32 v56, v29, v37
	v_sub_f32_e32 v57, v30, v32
	v_sub_f32_e32 v58, v29, v37
	;; [unrolled: 1-line block ×4, first 2 shown]
	v_add_f32_e32 v15, v15, v36
	v_mov_b32_e32 v59, v14
	v_sub_f32_e32 v30, v34, v30
	v_sub_f32_e32 v29, v35, v29
	v_add_f32_e32 v34, v55, v34
	v_add_f32_e32 v35, v56, v35
	v_mul_f32_e32 v28, 0x3f4a47b2, v28
	v_mul_f32_e32 v31, 0x3f4a47b2, v31
	;; [unrolled: 1-line block ×8, first 2 shown]
	v_fmac_f32_e32 v59, 0xbf955555, v33
	v_mov_b32_e32 v33, v15
	v_fmac_f32_e32 v33, 0xbf955555, v36
	v_fma_f32 v36, v53, s7, -v51
	v_fma_f32 v51, v54, s7, -v52
	v_fma_f32 v52, v53, s10, -v28
	v_fmac_f32_e32 v28, 0x3d64c772, v38
	v_fma_f32 v38, v54, s10, -v31
	v_fmac_f32_e32 v31, 0x3d64c772, v39
	v_fma_f32 v39, v32, s6, -v55
	;; [unrolled: 2-line block ×4, first 2 shown]
	v_fma_f32 v54, v29, s11, -v58
	v_add_f32_e32 v57, v28, v59
	v_add_f32_e32 v58, v31, v33
	;; [unrolled: 1-line block ×6, first 2 shown]
	v_fmac_f32_e32 v55, 0x3ee1c552, v34
	v_fmac_f32_e32 v56, 0x3ee1c552, v35
	;; [unrolled: 1-line block ×6, first 2 shown]
	v_add_f32_e32 v28, v56, v57
	v_sub_f32_e32 v29, v58, v55
	v_add_f32_e32 v30, v54, v52
	v_sub_f32_e32 v31, v38, v53
	v_sub_f32_e32 v32, v36, v37
	v_add_f32_e32 v33, v39, v51
	v_add_f32_e32 v34, v37, v36
	v_sub_f32_e32 v35, v51, v39
	v_sub_f32_e32 v36, v52, v54
	v_add_f32_e32 v37, v53, v38
	v_sub_f32_e32 v38, v57, v56
	v_add_f32_e32 v39, v55, v58
	ds_write2_b64 v46, v[12:13], v[14:15] offset1:56
	ds_write2_b64 v46, v[16:17], v[28:29] offset0:144 offset1:200
	ds_write2_b64 v41, v[18:19], v[30:31] offset0:32 offset1:88
	;; [unrolled: 1-line block ×6, first 2 shown]
	s_and_saveexec_b64 s[4:5], vcc
	s_cbranch_execz .LBB0_21
; %bb.20:
	v_subrev_u32_e32 v12, 32, v40
	v_cndmask_b32_e32 v12, v12, v49, vcc
	v_mul_i32_i24_e32 v12, 6, v12
	v_mov_b32_e32 v13, 0
	v_lshlrev_b64 v[12:13], 3, v[12:13]
	v_mov_b32_e32 v14, s9
	v_add_co_u32_e32 v24, vcc, s8, v12
	v_addc_co_u32_e32 v25, vcc, v14, v13, vcc
	global_load_dwordx4 v[12:15], v[24:25], off offset:1136
	global_load_dwordx4 v[16:19], v[24:25], off offset:1168
	;; [unrolled: 1-line block ×3, first 2 shown]
	s_waitcnt vmcnt(2)
	v_mul_f32_e32 v24, v7, v13
	s_waitcnt vmcnt(1)
	v_mul_f32_e32 v25, v45, v19
	;; [unrolled: 2-line block ×3, first 2 shown]
	v_mul_f32_e32 v27, v3, v21
	v_mul_f32_e32 v28, v1, v15
	;; [unrolled: 1-line block ×9, first 2 shown]
	v_fma_f32 v6, v6, v12, -v24
	v_fma_f32 v24, v44, v18, -v25
	;; [unrolled: 1-line block ×6, first 2 shown]
	v_fmac_f32_e32 v19, v45, v18
	v_fmac_f32_e32 v13, v7, v12
	;; [unrolled: 1-line block ×6, first 2 shown]
	v_sub_f32_e32 v1, v6, v24
	v_sub_f32_e32 v3, v8, v2
	;; [unrolled: 1-line block ×3, first 2 shown]
	v_add_f32_e32 v9, v13, v19
	v_add_f32_e32 v12, v15, v17
	;; [unrolled: 1-line block ×6, first 2 shown]
	v_sub_f32_e32 v10, v13, v19
	v_sub_f32_e32 v0, v23, v21
	;; [unrolled: 1-line block ×5, first 2 shown]
	v_add_f32_e32 v3, v3, v7
	v_add_f32_e32 v18, v12, v9
	v_sub_f32_e32 v16, v9, v11
	v_sub_f32_e32 v17, v11, v12
	;; [unrolled: 1-line block ×3, first 2 shown]
	v_add_f32_e32 v21, v8, v6
	v_sub_f32_e32 v23, v0, v13
	v_sub_f32_e32 v7, v7, v1
	;; [unrolled: 1-line block ×3, first 2 shown]
	v_mul_f32_e32 v12, 0xbf08b237, v15
	v_add_f32_e32 v15, v3, v1
	v_add_f32_e32 v3, v11, v18
	v_sub_f32_e32 v20, v2, v8
	v_sub_f32_e32 v22, v10, v0
	v_add_f32_e32 v0, v0, v13
	v_mul_f32_e32 v16, 0x3f4a47b2, v16
	v_mul_f32_e32 v11, 0x3f4a47b2, v19
	v_add_f32_e32 v2, v2, v21
	v_mul_f32_e32 v19, 0xbf08b237, v23
	v_mul_f32_e32 v23, 0x3f5ff5aa, v7
	v_mov_b32_e32 v25, v12
	v_add_f32_e32 v1, v5, v3
	v_add_f32_e32 v21, v0, v10
	v_mov_b32_e32 v26, v16
	v_add_f32_e32 v0, v4, v2
	v_fma_f32 v23, v14, s11, -v23
	v_fmac_f32_e32 v25, 0x3eae86e6, v14
	v_mov_b32_e32 v14, v1
	v_mul_f32_e32 v24, 0x3d64c772, v17
	v_fmac_f32_e32 v26, 0x3d64c772, v17
	v_mov_b32_e32 v17, v0
	v_fmac_f32_e32 v14, 0xbf955555, v3
	v_fma_f32 v4, v9, s10, -v16
	v_sub_f32_e32 v6, v8, v6
	v_mul_f32_e32 v18, 0x3d64c772, v20
	v_mov_b32_e32 v5, v11
	v_mov_b32_e32 v27, v19
	v_fmac_f32_e32 v17, 0xbf955555, v2
	v_add_f32_e32 v16, v4, v14
	v_fma_f32 v4, v6, s10, -v11
	v_sub_f32_e32 v8, v13, v10
	v_fmac_f32_e32 v5, 0x3d64c772, v20
	v_fmac_f32_e32 v27, 0x3eae86e6, v22
	v_add_f32_e32 v28, v4, v17
	v_mul_f32_e32 v4, 0x3f5ff5aa, v8
	v_fma_f32 v8, v8, s6, -v19
	v_fma_f32 v6, v6, s7, -v18
	v_fmac_f32_e32 v25, 0x3ee1c552, v15
	v_fmac_f32_e32 v27, 0x3ee1c552, v21
	v_add_f32_e32 v20, v26, v14
	v_add_f32_e32 v26, v5, v17
	v_fma_f32 v10, v22, s11, -v4
	v_fma_f32 v9, v9, s7, -v24
	v_fma_f32 v11, v7, s6, -v12
	v_fmac_f32_e32 v8, 0x3ee1c552, v21
	v_add_f32_e32 v12, v6, v17
	v_fmac_f32_e32 v23, 0x3ee1c552, v15
	v_fmac_f32_e32 v10, 0x3ee1c552, v21
	v_add_f32_e32 v9, v9, v14
	v_fmac_f32_e32 v11, 0x3ee1c552, v15
	v_add_f32_e32 v6, v8, v12
	v_sub_f32_e32 v8, v12, v8
	v_sub_f32_e32 v13, v20, v25
	v_add_f32_e32 v12, v27, v26
	v_add_u32_e32 v14, 0x200, v46
	v_sub_f32_e32 v4, v28, v10
	v_sub_f32_e32 v7, v9, v11
	v_add_f32_e32 v9, v11, v9
	v_sub_f32_e32 v11, v16, v23
	v_add_f32_e32 v10, v10, v28
	ds_write2_b64 v14, v[0:1], v[12:13] offset0:48 offset1:192
	v_add_u32_e32 v0, 0xc00, v46
	v_add_f32_e32 v5, v23, v16
	ds_write2_b64 v0, v[10:11], v[8:9] offset0:16 offset1:160
	v_add_u32_e32 v0, 0x1400, v46
	v_add_f32_e32 v3, v25, v20
	v_sub_f32_e32 v2, v26, v27
	ds_write2_b64 v0, v[6:7], v[4:5] offset0:48 offset1:192
	ds_write_b64 v46, v[2:3] offset:7808
.LBB0_21:
	s_or_b64 exec, exec, s[4:5]
	s_waitcnt lgkmcnt(0)
	; wave barrier
	s_waitcnt lgkmcnt(0)
	s_and_saveexec_b64 s[4:5], s[0:1]
	s_cbranch_execz .LBB0_23
; %bb.22:
	v_lshl_add_u32 v6, v40, 3, 0
	v_mov_b32_e32 v41, 0
	ds_read2_b64 v[0:3], v6 offset1:56
	v_mov_b32_e32 v4, s3
	v_add_co_u32_e32 v7, vcc, s2, v42
	v_addc_co_u32_e32 v8, vcc, v4, v43, vcc
	v_lshlrev_b64 v[4:5], 3, v[40:41]
	v_add_u32_e32 v9, 0x800, v6
	v_add_co_u32_e32 v4, vcc, v7, v4
	v_addc_co_u32_e32 v5, vcc, v8, v5, vcc
	s_waitcnt lgkmcnt(0)
	global_store_dwordx2 v[4:5], v[0:1], off
	v_add_u32_e32 v0, 56, v40
	v_mov_b32_e32 v1, v41
	v_lshlrev_b64 v[0:1], 3, v[0:1]
	v_add_u32_e32 v4, 0x70, v40
	v_add_co_u32_e32 v0, vcc, v7, v0
	v_addc_co_u32_e32 v1, vcc, v8, v1, vcc
	global_store_dwordx2 v[0:1], v[2:3], off
	v_mov_b32_e32 v5, v41
	ds_read2_b64 v[0:3], v6 offset0:112 offset1:168
	v_lshlrev_b64 v[4:5], 3, v[4:5]
	v_add_co_u32_e32 v4, vcc, v7, v4
	v_addc_co_u32_e32 v5, vcc, v8, v5, vcc
	s_waitcnt lgkmcnt(0)
	global_store_dwordx2 v[4:5], v[0:1], off
	v_add_u32_e32 v0, 0xa8, v40
	v_mov_b32_e32 v1, v41
	v_lshlrev_b64 v[0:1], 3, v[0:1]
	v_add_u32_e32 v4, 0xe0, v40
	v_add_co_u32_e32 v0, vcc, v7, v0
	v_addc_co_u32_e32 v1, vcc, v8, v1, vcc
	global_store_dwordx2 v[0:1], v[2:3], off
	v_add_u32_e32 v0, 0x400, v6
	v_mov_b32_e32 v5, v41
	ds_read2_b64 v[0:3], v0 offset0:96 offset1:152
	v_lshlrev_b64 v[4:5], 3, v[4:5]
	v_add_co_u32_e32 v4, vcc, v7, v4
	v_addc_co_u32_e32 v5, vcc, v8, v5, vcc
	s_waitcnt lgkmcnt(0)
	global_store_dwordx2 v[4:5], v[0:1], off
	v_add_u32_e32 v0, 0x118, v40
	v_mov_b32_e32 v1, v41
	v_lshlrev_b64 v[0:1], 3, v[0:1]
	v_add_u32_e32 v4, 0x150, v40
	v_add_co_u32_e32 v0, vcc, v7, v0
	v_addc_co_u32_e32 v1, vcc, v8, v1, vcc
	global_store_dwordx2 v[0:1], v[2:3], off
	v_mov_b32_e32 v5, v41
	ds_read2_b64 v[0:3], v9 offset0:80 offset1:136
	v_lshlrev_b64 v[4:5], 3, v[4:5]
	v_add_co_u32_e32 v4, vcc, v7, v4
	v_addc_co_u32_e32 v5, vcc, v8, v5, vcc
	s_waitcnt lgkmcnt(0)
	global_store_dwordx2 v[4:5], v[0:1], off
	v_add_u32_e32 v0, 0x188, v40
	v_mov_b32_e32 v1, v41
	v_lshlrev_b64 v[0:1], 3, v[0:1]
	v_add_u32_e32 v4, 0x1c0, v40
	v_add_co_u32_e32 v0, vcc, v7, v0
	v_addc_co_u32_e32 v1, vcc, v8, v1, vcc
	global_store_dwordx2 v[0:1], v[2:3], off
	v_mov_b32_e32 v5, v41
	ds_read2_b64 v[0:3], v9 offset0:192 offset1:248
	v_lshlrev_b64 v[4:5], 3, v[4:5]
	v_add_u32_e32 v9, 0x1000, v6
	v_add_co_u32_e32 v4, vcc, v7, v4
	v_addc_co_u32_e32 v5, vcc, v8, v5, vcc
	s_waitcnt lgkmcnt(0)
	global_store_dwordx2 v[4:5], v[0:1], off
	v_add_u32_e32 v0, 0x1f8, v40
	v_mov_b32_e32 v1, v41
	v_lshlrev_b64 v[0:1], 3, v[0:1]
	v_add_u32_e32 v4, 0x230, v40
	v_add_co_u32_e32 v0, vcc, v7, v0
	v_addc_co_u32_e32 v1, vcc, v8, v1, vcc
	global_store_dwordx2 v[0:1], v[2:3], off
	v_mov_b32_e32 v5, v41
	ds_read2_b64 v[0:3], v9 offset0:48 offset1:104
	v_lshlrev_b64 v[4:5], 3, v[4:5]
	v_add_u32_e32 v6, 0x1800, v6
	v_add_co_u32_e32 v4, vcc, v7, v4
	v_addc_co_u32_e32 v5, vcc, v8, v5, vcc
	s_waitcnt lgkmcnt(0)
	global_store_dwordx2 v[4:5], v[0:1], off
	v_add_u32_e32 v0, 0x268, v40
	v_mov_b32_e32 v1, v41
	v_lshlrev_b64 v[0:1], 3, v[0:1]
	v_add_u32_e32 v4, 0x2a0, v40
	v_add_co_u32_e32 v0, vcc, v7, v0
	v_addc_co_u32_e32 v1, vcc, v8, v1, vcc
	global_store_dwordx2 v[0:1], v[2:3], off
	v_mov_b32_e32 v5, v41
	ds_read2_b64 v[0:3], v9 offset0:160 offset1:216
	v_lshlrev_b64 v[4:5], 3, v[4:5]
	v_add_co_u32_e32 v4, vcc, v7, v4
	v_addc_co_u32_e32 v5, vcc, v8, v5, vcc
	s_waitcnt lgkmcnt(0)
	global_store_dwordx2 v[4:5], v[0:1], off
	v_add_u32_e32 v0, 0x2d8, v40
	v_mov_b32_e32 v1, v41
	v_lshlrev_b64 v[0:1], 3, v[0:1]
	v_add_u32_e32 v4, 0x310, v40
	v_add_co_u32_e32 v0, vcc, v7, v0
	v_addc_co_u32_e32 v1, vcc, v8, v1, vcc
	global_store_dwordx2 v[0:1], v[2:3], off
	v_mov_b32_e32 v5, v41
	ds_read2_b64 v[0:3], v6 offset0:16 offset1:72
	v_lshlrev_b64 v[4:5], 3, v[4:5]
	;; [unrolled: 14-line block ×3, first 2 shown]
	v_add_u32_e32 v40, 0x3b8, v40
	v_add_co_u32_e32 v4, vcc, v7, v4
	v_addc_co_u32_e32 v5, vcc, v8, v5, vcc
	s_waitcnt lgkmcnt(0)
	global_store_dwordx2 v[4:5], v[0:1], off
	v_lshlrev_b64 v[0:1], 3, v[40:41]
	v_add_co_u32_e32 v0, vcc, v7, v0
	v_addc_co_u32_e32 v1, vcc, v8, v1, vcc
	global_store_dwordx2 v[0:1], v[2:3], off
.LBB0_23:
	s_endpgm
	.section	.rodata,"a",@progbits
	.p2align	6, 0x0
	.amdhsa_kernel fft_rtc_fwd_len1008_factors_2_2_2_2_3_3_7_wgs_56_tpt_56_halfLds_sp_ip_CI_unitstride_sbrr_C2R_dirReg
		.amdhsa_group_segment_fixed_size 0
		.amdhsa_private_segment_fixed_size 0
		.amdhsa_kernarg_size 88
		.amdhsa_user_sgpr_count 6
		.amdhsa_user_sgpr_private_segment_buffer 1
		.amdhsa_user_sgpr_dispatch_ptr 0
		.amdhsa_user_sgpr_queue_ptr 0
		.amdhsa_user_sgpr_kernarg_segment_ptr 1
		.amdhsa_user_sgpr_dispatch_id 0
		.amdhsa_user_sgpr_flat_scratch_init 0
		.amdhsa_user_sgpr_private_segment_size 0
		.amdhsa_uses_dynamic_stack 0
		.amdhsa_system_sgpr_private_segment_wavefront_offset 0
		.amdhsa_system_sgpr_workgroup_id_x 1
		.amdhsa_system_sgpr_workgroup_id_y 0
		.amdhsa_system_sgpr_workgroup_id_z 0
		.amdhsa_system_sgpr_workgroup_info 0
		.amdhsa_system_vgpr_workitem_id 0
		.amdhsa_next_free_vgpr 69
		.amdhsa_next_free_sgpr 22
		.amdhsa_reserve_vcc 1
		.amdhsa_reserve_flat_scratch 0
		.amdhsa_float_round_mode_32 0
		.amdhsa_float_round_mode_16_64 0
		.amdhsa_float_denorm_mode_32 3
		.amdhsa_float_denorm_mode_16_64 3
		.amdhsa_dx10_clamp 1
		.amdhsa_ieee_mode 1
		.amdhsa_fp16_overflow 0
		.amdhsa_exception_fp_ieee_invalid_op 0
		.amdhsa_exception_fp_denorm_src 0
		.amdhsa_exception_fp_ieee_div_zero 0
		.amdhsa_exception_fp_ieee_overflow 0
		.amdhsa_exception_fp_ieee_underflow 0
		.amdhsa_exception_fp_ieee_inexact 0
		.amdhsa_exception_int_div_zero 0
	.end_amdhsa_kernel
	.text
.Lfunc_end0:
	.size	fft_rtc_fwd_len1008_factors_2_2_2_2_3_3_7_wgs_56_tpt_56_halfLds_sp_ip_CI_unitstride_sbrr_C2R_dirReg, .Lfunc_end0-fft_rtc_fwd_len1008_factors_2_2_2_2_3_3_7_wgs_56_tpt_56_halfLds_sp_ip_CI_unitstride_sbrr_C2R_dirReg
                                        ; -- End function
	.section	.AMDGPU.csdata,"",@progbits
; Kernel info:
; codeLenInByte = 11156
; NumSgprs: 26
; NumVgprs: 69
; ScratchSize: 0
; MemoryBound: 0
; FloatMode: 240
; IeeeMode: 1
; LDSByteSize: 0 bytes/workgroup (compile time only)
; SGPRBlocks: 3
; VGPRBlocks: 17
; NumSGPRsForWavesPerEU: 26
; NumVGPRsForWavesPerEU: 69
; Occupancy: 3
; WaveLimiterHint : 1
; COMPUTE_PGM_RSRC2:SCRATCH_EN: 0
; COMPUTE_PGM_RSRC2:USER_SGPR: 6
; COMPUTE_PGM_RSRC2:TRAP_HANDLER: 0
; COMPUTE_PGM_RSRC2:TGID_X_EN: 1
; COMPUTE_PGM_RSRC2:TGID_Y_EN: 0
; COMPUTE_PGM_RSRC2:TGID_Z_EN: 0
; COMPUTE_PGM_RSRC2:TIDIG_COMP_CNT: 0
	.type	__hip_cuid_e27e77142ea42473,@object ; @__hip_cuid_e27e77142ea42473
	.section	.bss,"aw",@nobits
	.globl	__hip_cuid_e27e77142ea42473
__hip_cuid_e27e77142ea42473:
	.byte	0                               ; 0x0
	.size	__hip_cuid_e27e77142ea42473, 1

	.ident	"AMD clang version 19.0.0git (https://github.com/RadeonOpenCompute/llvm-project roc-6.4.0 25133 c7fe45cf4b819c5991fe208aaa96edf142730f1d)"
	.section	".note.GNU-stack","",@progbits
	.addrsig
	.addrsig_sym __hip_cuid_e27e77142ea42473
	.amdgpu_metadata
---
amdhsa.kernels:
  - .args:
      - .actual_access:  read_only
        .address_space:  global
        .offset:         0
        .size:           8
        .value_kind:     global_buffer
      - .offset:         8
        .size:           8
        .value_kind:     by_value
      - .actual_access:  read_only
        .address_space:  global
        .offset:         16
        .size:           8
        .value_kind:     global_buffer
      - .actual_access:  read_only
        .address_space:  global
        .offset:         24
        .size:           8
        .value_kind:     global_buffer
      - .offset:         32
        .size:           8
        .value_kind:     by_value
      - .actual_access:  read_only
        .address_space:  global
        .offset:         40
        .size:           8
        .value_kind:     global_buffer
      - .actual_access:  read_only
        .address_space:  global
        .offset:         48
        .size:           8
        .value_kind:     global_buffer
      - .offset:         56
        .size:           4
        .value_kind:     by_value
      - .actual_access:  read_only
        .address_space:  global
        .offset:         64
        .size:           8
        .value_kind:     global_buffer
      - .actual_access:  read_only
        .address_space:  global
        .offset:         72
        .size:           8
        .value_kind:     global_buffer
      - .address_space:  global
        .offset:         80
        .size:           8
        .value_kind:     global_buffer
    .group_segment_fixed_size: 0
    .kernarg_segment_align: 8
    .kernarg_segment_size: 88
    .language:       OpenCL C
    .language_version:
      - 2
      - 0
    .max_flat_workgroup_size: 56
    .name:           fft_rtc_fwd_len1008_factors_2_2_2_2_3_3_7_wgs_56_tpt_56_halfLds_sp_ip_CI_unitstride_sbrr_C2R_dirReg
    .private_segment_fixed_size: 0
    .sgpr_count:     26
    .sgpr_spill_count: 0
    .symbol:         fft_rtc_fwd_len1008_factors_2_2_2_2_3_3_7_wgs_56_tpt_56_halfLds_sp_ip_CI_unitstride_sbrr_C2R_dirReg.kd
    .uniform_work_group_size: 1
    .uses_dynamic_stack: false
    .vgpr_count:     69
    .vgpr_spill_count: 0
    .wavefront_size: 64
amdhsa.target:   amdgcn-amd-amdhsa--gfx906
amdhsa.version:
  - 1
  - 2
...

	.end_amdgpu_metadata
